;; amdgpu-corpus repo=ROCm/rocFFT kind=compiled arch=gfx906 opt=O3
	.text
	.amdgcn_target "amdgcn-amd-amdhsa--gfx906"
	.amdhsa_code_object_version 6
	.protected	bluestein_single_back_len765_dim1_dp_op_CI_CI ; -- Begin function bluestein_single_back_len765_dim1_dp_op_CI_CI
	.globl	bluestein_single_back_len765_dim1_dp_op_CI_CI
	.p2align	8
	.type	bluestein_single_back_len765_dim1_dp_op_CI_CI,@function
bluestein_single_back_len765_dim1_dp_op_CI_CI: ; @bluestein_single_back_len765_dim1_dp_op_CI_CI
; %bb.0:
	s_mov_b64 s[66:67], s[2:3]
	v_mul_u32_u24_e32 v1, 0x506, v0
	s_mov_b64 s[64:65], s[0:1]
	s_load_dwordx4 s[0:3], s[4:5], 0x28
	v_lshrrev_b32_e32 v1, 16, v1
	s_add_u32 s64, s64, s7
	v_mad_u64_u32 v[245:246], s[6:7], s6, 5, v[1:2]
	v_mov_b32_e32 v246, 0
	s_addc_u32 s65, s65, 0
	s_waitcnt lgkmcnt(0)
	v_cmp_gt_u64_e32 vcc, s[0:1], v[245:246]
	s_and_saveexec_b64 s[0:1], vcc
	s_cbranch_execz .LBB0_15
; %bb.1:
	s_mov_b32 s0, 0xcccccccd
	v_mul_hi_u32 v2, v245, s0
	v_mul_lo_u16_e32 v1, 51, v1
	s_load_dwordx2 s[12:13], s[4:5], 0x0
	s_load_dwordx2 s[14:15], s[4:5], 0x38
	v_sub_u16_e32 v201, v0, v1
	v_lshrrev_b32_e32 v0, 2, v2
	v_lshl_add_u32 v0, v0, 2, v0
	v_sub_u32_e32 v0, v245, v0
	v_mul_u32_u24_e32 v202, 0x2fd, v0
	v_cmp_gt_u16_e64 s[0:1], 45, v201
	v_lshlrev_b32_e32 v200, 4, v201
	v_lshlrev_b32_e32 v203, 4, v202
	s_and_saveexec_b64 s[6:7], s[0:1]
	s_cbranch_execz .LBB0_3
; %bb.2:
	s_load_dwordx2 s[8:9], s[4:5], 0x18
	s_waitcnt lgkmcnt(0)
	v_mov_b32_e32 v28, s13
	s_load_dwordx4 s[8:11], s[8:9], 0x0
	s_waitcnt lgkmcnt(0)
	v_mad_u64_u32 v[0:1], s[16:17], s10, v245, 0
	v_mad_u64_u32 v[2:3], s[16:17], s8, v201, 0
	;; [unrolled: 1-line block ×4, first 2 shown]
	v_mov_b32_e32 v1, v4
	v_lshlrev_b64 v[0:1], 4, v[0:1]
	v_mov_b32_e32 v3, v5
	v_mov_b32_e32 v6, s3
	v_lshlrev_b64 v[2:3], 4, v[2:3]
	v_add_co_u32_e32 v0, vcc, s2, v0
	v_addc_co_u32_e32 v1, vcc, v6, v1, vcc
	v_add_co_u32_e32 v44, vcc, v0, v2
	v_addc_co_u32_e32 v45, vcc, v1, v3, vcc
	global_load_dwordx4 v[0:3], v200, s[12:13]
	global_load_dwordx4 v[4:7], v[44:45], off
	v_add_co_u32_e32 v102, vcc, s12, v200
	s_movk_i32 s2, 0x1000
	v_addc_co_u32_e32 v103, vcc, 0, v28, vcc
	v_add_co_u32_e32 v96, vcc, s2, v102
	s_mul_i32 s3, s9, 0x2d0
	s_mul_hi_u32 s9, s8, 0x2d0
	v_addc_co_u32_e32 v97, vcc, 0, v103, vcc
	s_mul_i32 s2, s8, 0x2d0
	s_add_i32 s3, s9, s3
	v_mov_b32_e32 v46, s3
	v_add_co_u32_e32 v47, vcc, s2, v44
	v_addc_co_u32_e32 v48, vcc, v45, v46, vcc
	v_mov_b32_e32 v50, s3
	v_add_co_u32_e32 v49, vcc, s2, v47
	v_addc_co_u32_e32 v50, vcc, v48, v50, vcc
	;; [unrolled: 3-line block ×4, first 2 shown]
	global_load_dwordx4 v[8:11], v200, s[12:13] offset:720
	global_load_dwordx4 v[12:15], v200, s[12:13] offset:1440
	;; [unrolled: 1-line block ×5, first 2 shown]
	global_load_dwordx4 v[28:31], v[96:97], off offset:224
	global_load_dwordx4 v[32:35], v[96:97], off offset:944
	;; [unrolled: 1-line block ×4, first 2 shown]
	v_add_co_u32_e32 v63, vcc, s2, v59
	global_load_dwordx4 v[44:47], v[47:48], off
	v_mov_b32_e32 v61, s3
	global_load_dwordx4 v[52:55], v[55:56], off
	v_addc_co_u32_e32 v64, vcc, v60, v61, vcc
	global_load_dwordx4 v[48:51], v[49:50], off
	v_mov_b32_e32 v65, s3
	global_load_dwordx4 v[56:59], v[59:60], off
	v_add_co_u32_e32 v67, vcc, s2, v63
	v_addc_co_u32_e32 v68, vcc, v64, v65, vcc
	v_mov_b32_e32 v69, s3
	v_add_co_u32_e32 v71, vcc, s2, v67
	v_addc_co_u32_e32 v72, vcc, v68, v69, vcc
	v_mov_b32_e32 v73, s3
	v_add_co_u32_e32 v75, vcc, s2, v71
	global_load_dwordx4 v[60:63], v[63:64], off
	v_addc_co_u32_e32 v76, vcc, v72, v73, vcc
	v_mov_b32_e32 v77, s3
	global_load_dwordx4 v[64:67], v[67:68], off
	v_add_co_u32_e32 v80, vcc, s2, v75
	global_load_dwordx4 v[68:71], v[71:72], off
	v_addc_co_u32_e32 v81, vcc, v76, v77, vcc
	v_mov_b32_e32 v82, s3
	global_load_dwordx4 v[72:75], v[75:76], off
	v_add_co_u32_e32 v84, vcc, s2, v80
	v_addc_co_u32_e32 v85, vcc, v81, v82, vcc
	v_mov_b32_e32 v86, s3
	v_add_co_u32_e32 v98, vcc, s2, v84
	v_addc_co_u32_e32 v99, vcc, v85, v86, vcc
	global_load_dwordx4 v[76:79], v[80:81], off
	v_add_co_u32_e32 v100, vcc, s2, v98
	global_load_dwordx4 v[80:83], v[84:85], off
	s_nop 0
	global_load_dwordx4 v[84:87], v[98:99], off
	global_load_dwordx4 v[88:91], v[96:97], off offset:3104
	global_load_dwordx4 v[92:95], v[96:97], off offset:3824
	v_mov_b32_e32 v96, s3
	v_addc_co_u32_e32 v101, vcc, v99, v96, vcc
	s_movk_i32 s8, 0x2000
	v_add_co_u32_e32 v132, vcc, s8, v102
	v_addc_co_u32_e32 v133, vcc, 0, v103, vcc
	v_mov_b32_e32 v102, s3
	v_add_co_u32_e32 v112, vcc, s2, v100
	v_addc_co_u32_e32 v113, vcc, v101, v102, vcc
	v_mov_b32_e32 v114, s3
	v_add_co_u32_e32 v116, vcc, s2, v112
	v_addc_co_u32_e32 v117, vcc, v113, v114, vcc
	global_load_dwordx4 v[96:99], v[100:101], off
	v_mov_b32_e32 v118, s3
	v_add_co_u32_e32 v128, vcc, s2, v116
	global_load_dwordx4 v[100:103], v[112:113], off
	global_load_dwordx4 v[104:107], v[132:133], off offset:448
	global_load_dwordx4 v[108:111], v[132:133], off offset:1168
	v_addc_co_u32_e32 v129, vcc, v117, v118, vcc
	global_load_dwordx4 v[112:115], v[116:117], off
	s_nop 0
	global_load_dwordx4 v[116:119], v[128:129], off
	global_load_dwordx4 v[120:123], v[132:133], off offset:1888
	global_load_dwordx4 v[124:127], v[132:133], off offset:2608
	v_mov_b32_e32 v130, s3
	v_add_co_u32_e32 v128, vcc, s2, v128
	v_addc_co_u32_e32 v129, vcc, v129, v130, vcc
	global_load_dwordx4 v[128:131], v[128:129], off
	s_nop 0
	global_load_dwordx4 v[132:135], v[132:133], off offset:3328
	s_waitcnt vmcnt(32)
	v_mul_f64 v[136:137], v[6:7], v[2:3]
	v_mul_f64 v[138:139], v[4:5], v[2:3]
	v_fma_f64 v[2:3], v[4:5], v[0:1], v[136:137]
	v_fma_f64 v[4:5], v[6:7], v[0:1], -v[138:139]
	v_lshl_add_u32 v6, v201, 4, v203
	s_waitcnt vmcnt(22)
	v_mul_f64 v[0:1], v[46:47], v[10:11]
	ds_write_b128 v6, v[2:5]
	v_mul_f64 v[2:3], v[44:45], v[10:11]
	s_waitcnt vmcnt(20)
	v_mul_f64 v[4:5], v[50:51], v[14:15]
	v_mul_f64 v[6:7], v[48:49], v[14:15]
	;; [unrolled: 1-line block ×4, first 2 shown]
	s_waitcnt vmcnt(19)
	v_mul_f64 v[18:19], v[58:59], v[22:23]
	v_mul_f64 v[22:23], v[56:57], v[22:23]
	v_fma_f64 v[0:1], v[44:45], v[8:9], v[0:1]
	v_fma_f64 v[2:3], v[46:47], v[8:9], -v[2:3]
	v_fma_f64 v[4:5], v[48:49], v[12:13], v[4:5]
	v_fma_f64 v[6:7], v[50:51], v[12:13], -v[6:7]
	;; [unrolled: 2-line block ×3, first 2 shown]
	v_fma_f64 v[12:13], v[56:57], v[20:21], v[18:19]
	s_waitcnt vmcnt(18)
	v_mul_f64 v[16:17], v[62:63], v[26:27]
	v_mul_f64 v[18:19], v[60:61], v[26:27]
	v_fma_f64 v[14:15], v[58:59], v[20:21], -v[22:23]
	s_waitcnt vmcnt(17)
	v_mul_f64 v[20:21], v[66:67], v[30:31]
	v_mul_f64 v[22:23], v[64:65], v[30:31]
	s_waitcnt vmcnt(16)
	v_mul_f64 v[26:27], v[70:71], v[34:35]
	v_mul_f64 v[30:31], v[68:69], v[34:35]
	;; [unrolled: 3-line block ×3, first 2 shown]
	v_fma_f64 v[16:17], v[60:61], v[24:25], v[16:17]
	v_fma_f64 v[18:19], v[62:63], v[24:25], -v[18:19]
	v_fma_f64 v[20:21], v[64:65], v[28:29], v[20:21]
	v_fma_f64 v[22:23], v[66:67], v[28:29], -v[22:23]
	;; [unrolled: 2-line block ×3, first 2 shown]
	v_add_u32_e32 v44, v203, v200
	v_fma_f64 v[28:29], v[72:73], v[36:37], v[34:35]
	v_fma_f64 v[30:31], v[74:75], v[36:37], -v[38:39]
	ds_write_b128 v44, v[0:3] offset:720
	ds_write_b128 v44, v[4:7] offset:1440
	;; [unrolled: 1-line block ×8, first 2 shown]
	s_waitcnt vmcnt(14)
	v_mul_f64 v[0:1], v[78:79], v[42:43]
	v_mul_f64 v[2:3], v[76:77], v[42:43]
	s_waitcnt vmcnt(11)
	v_mul_f64 v[4:5], v[82:83], v[90:91]
	v_mul_f64 v[6:7], v[80:81], v[90:91]
	;; [unrolled: 3-line block ×3, first 2 shown]
	v_fma_f64 v[0:1], v[76:77], v[40:41], v[0:1]
	v_fma_f64 v[2:3], v[78:79], v[40:41], -v[2:3]
	v_fma_f64 v[4:5], v[80:81], v[88:89], v[4:5]
	v_fma_f64 v[6:7], v[82:83], v[88:89], -v[6:7]
	;; [unrolled: 2-line block ×3, first 2 shown]
	s_waitcnt vmcnt(7)
	v_mul_f64 v[12:13], v[98:99], v[106:107]
	v_mul_f64 v[14:15], v[96:97], v[106:107]
	s_waitcnt vmcnt(6)
	v_mul_f64 v[16:17], v[102:103], v[110:111]
	v_mul_f64 v[18:19], v[100:101], v[110:111]
	;; [unrolled: 3-line block ×4, first 2 shown]
	v_fma_f64 v[12:13], v[96:97], v[104:105], v[12:13]
	v_fma_f64 v[14:15], v[98:99], v[104:105], -v[14:15]
	v_fma_f64 v[16:17], v[100:101], v[108:109], v[16:17]
	s_waitcnt vmcnt(0)
	v_mul_f64 v[28:29], v[130:131], v[134:135]
	v_mul_f64 v[30:31], v[128:129], v[134:135]
	v_fma_f64 v[18:19], v[102:103], v[108:109], -v[18:19]
	v_fma_f64 v[20:21], v[112:113], v[120:121], v[20:21]
	v_fma_f64 v[22:23], v[114:115], v[120:121], -v[22:23]
	v_fma_f64 v[24:25], v[116:117], v[124:125], v[24:25]
	;; [unrolled: 2-line block ×3, first 2 shown]
	v_fma_f64 v[30:31], v[130:131], v[132:133], -v[30:31]
	ds_write_b128 v44, v[0:3] offset:6480
	ds_write_b128 v44, v[4:7] offset:7200
	;; [unrolled: 1-line block ×8, first 2 shown]
.LBB0_3:
	s_or_b64 exec, exec, s[6:7]
	s_load_dwordx2 s[6:7], s[4:5], 0x20
	s_load_dwordx2 s[2:3], s[4:5], 0x8
	s_waitcnt lgkmcnt(0)
	s_barrier
	s_waitcnt lgkmcnt(0)
                                        ; implicit-def: $vgpr8_vgpr9
                                        ; implicit-def: $vgpr68_vgpr69
                                        ; implicit-def: $vgpr72_vgpr73
                                        ; implicit-def: $vgpr64_vgpr65
                                        ; implicit-def: $vgpr56_vgpr57
                                        ; implicit-def: $vgpr60_vgpr61
                                        ; implicit-def: $vgpr12_vgpr13
                                        ; implicit-def: $vgpr16_vgpr17
                                        ; implicit-def: $vgpr20_vgpr21
                                        ; implicit-def: $vgpr24_vgpr25
                                        ; implicit-def: $vgpr28_vgpr29
                                        ; implicit-def: $vgpr32_vgpr33
                                        ; implicit-def: $vgpr36_vgpr37
                                        ; implicit-def: $vgpr40_vgpr41
                                        ; implicit-def: $vgpr44_vgpr45
                                        ; implicit-def: $vgpr48_vgpr49
                                        ; implicit-def: $vgpr52_vgpr53
	s_and_saveexec_b64 s[4:5], s[0:1]
	s_cbranch_execz .LBB0_5
; %bb.4:
	v_lshl_add_u32 v0, v202, 4, v200
	ds_read_b128 v[8:11], v0
	ds_read_b128 v[68:71], v0 offset:720
	ds_read_b128 v[72:75], v0 offset:1440
	ds_read_b128 v[64:67], v0 offset:2160
	ds_read_b128 v[56:59], v0 offset:2880
	ds_read_b128 v[60:63], v0 offset:3600
	ds_read_b128 v[12:15], v0 offset:4320
	ds_read_b128 v[16:19], v0 offset:5040
	ds_read_b128 v[20:23], v0 offset:5760
	ds_read_b128 v[24:27], v0 offset:6480
	ds_read_b128 v[28:31], v0 offset:7200
	ds_read_b128 v[32:35], v0 offset:7920
	ds_read_b128 v[36:39], v0 offset:8640
	ds_read_b128 v[40:43], v0 offset:9360
	ds_read_b128 v[44:47], v0 offset:10080
	ds_read_b128 v[48:51], v0 offset:10800
	ds_read_b128 v[52:55], v0 offset:11520
.LBB0_5:
	s_or_b64 exec, exec, s[4:5]
	s_waitcnt lgkmcnt(0)
	v_add_f64 v[164:165], v[70:71], -v[54:55]
	v_add_f64 v[148:149], v[68:69], -v[52:53]
	s_mov_b32 s18, 0x5d8e7cdc
	s_mov_b32 s19, 0xbfd71e95
	v_add_f64 v[120:121], v[68:69], v[52:53]
	v_add_f64 v[128:129], v[70:71], v[54:55]
	v_add_f64 v[182:183], v[74:75], -v[50:51]
	v_add_f64 v[160:161], v[72:73], -v[48:49]
	v_mul_f64 v[88:89], v[164:165], s[18:19]
	v_mul_f64 v[90:91], v[148:149], s[18:19]
	s_mov_b32 s4, 0x370991
	s_mov_b32 s24, 0x2a9d6da3
	;; [unrolled: 1-line block ×4, first 2 shown]
	v_mul_f64 v[92:93], v[164:165], s[24:25]
	v_mul_f64 v[136:137], v[148:149], s[24:25]
	v_fma_f64 v[0:1], v[120:121], s[4:5], v[88:89]
	v_fma_f64 v[2:3], v[128:129], s[4:5], -v[90:91]
	v_add_f64 v[130:131], v[72:73], v[48:49]
	v_add_f64 v[144:145], v[74:75], v[50:51]
	v_mul_f64 v[94:95], v[182:183], s[24:25]
	v_mul_f64 v[116:117], v[160:161], s[24:25]
	v_add_f64 v[196:197], v[66:67], -v[46:47]
	v_add_f64 v[180:181], v[64:65], -v[44:45]
	s_mov_b32 s8, 0x75d4884
	s_mov_b32 s16, 0xeb564b22
	;; [unrolled: 1-line block ×6, first 2 shown]
	v_fma_f64 v[4:5], v[120:121], s[8:9], v[92:93]
	v_fma_f64 v[6:7], v[128:129], s[8:9], -v[136:137]
	v_add_f64 v[0:1], v[8:9], v[0:1]
	v_add_f64 v[2:3], v[10:11], v[2:3]
	v_mul_f64 v[118:119], v[182:183], s[16:17]
	v_mul_f64 v[140:141], v[160:161], s[16:17]
	v_fma_f64 v[76:77], v[130:131], s[8:9], v[94:95]
	v_fma_f64 v[78:79], v[144:145], s[8:9], -v[116:117]
	v_add_f64 v[142:143], v[64:65], v[44:45]
	v_add_f64 v[152:153], v[66:67], v[46:47]
	v_mul_f64 v[122:123], v[196:197], s[38:39]
	v_mul_f64 v[124:125], v[180:181], s[38:39]
	v_add_f64 v[214:215], v[58:59], -v[42:43]
	v_add_f64 v[198:199], v[56:57], -v[40:41]
	s_mov_b32 s10, 0x3259b75e
	s_mov_b32 s20, 0x2b2883cd
	s_mov_b32 s40, 0x6c9a05f6
	s_mov_b32 s11, 0x3fb79ee6
	s_mov_b32 s21, 0x3fdc86fa
	s_mov_b32 s41, 0xbfe9895b
	v_add_f64 v[4:5], v[8:9], v[4:5]
	v_add_f64 v[6:7], v[10:11], v[6:7]
	v_fma_f64 v[80:81], v[130:131], s[10:11], v[118:119]
	v_fma_f64 v[82:83], v[144:145], s[10:11], -v[140:141]
	v_add_f64 v[0:1], v[76:77], v[0:1]
	v_add_f64 v[2:3], v[78:79], v[2:3]
	v_mul_f64 v[126:127], v[196:197], s[40:41]
	v_mul_f64 v[156:157], v[180:181], s[40:41]
	v_fma_f64 v[76:77], v[142:143], s[20:21], v[122:123]
	v_fma_f64 v[78:79], v[152:153], s[20:21], -v[124:125]
	v_add_f64 v[172:173], v[56:57], v[40:41]
	v_add_f64 v[174:175], v[58:59], v[42:43]
	v_mul_f64 v[132:133], v[214:215], s[16:17]
	v_mul_f64 v[134:135], v[198:199], s[16:17]
	v_add_f64 v[231:232], v[62:63], -v[38:39]
	v_add_f64 v[208:209], v[60:61], -v[36:37]
	s_mov_b32 s26, 0x6ed5f1bb
	s_mov_b32 s44, 0xacd6c6b4
	s_mov_b32 s46, 0x923c349f
	s_mov_b32 s27, 0xbfe348c8
	s_mov_b32 s45, 0xbfc7851a
	s_mov_b32 s47, 0xbfeec746
	v_add_f64 v[4:5], v[80:81], v[4:5]
	v_add_f64 v[6:7], v[82:83], v[6:7]
	;; [unrolled: 22-line block ×3, first 2 shown]
	v_fma_f64 v[80:81], v[172:173], s[28:29], v[138:139]
	v_fma_f64 v[82:83], v[174:175], s[28:29], -v[170:171]
	v_add_f64 v[0:1], v[76:77], v[0:1]
	v_add_f64 v[2:3], v[78:79], v[2:3]
	v_fma_f64 v[76:77], v[166:167], s[34:35], v[146:147]
	v_fma_f64 v[78:79], v[188:189], s[34:35], -v[150:151]
	v_mul_f64 v[162:163], v[231:232], s[36:37]
	v_mul_f64 v[194:195], v[208:209], s[36:37]
	v_add_f64 v[190:191], v[12:13], v[32:33]
	v_add_f64 v[206:207], v[14:15], v[34:35]
	v_mul_f64 v[154:155], v[233:234], s[40:41]
	v_mul_f64 v[158:159], v[229:230], s[40:41]
	s_mov_b32 s30, 0x910ea3b9
	s_mov_b32 s31, 0xbfeb34fa
	;; [unrolled: 1-line block ×4, first 2 shown]
	v_add_f64 v[4:5], v[80:81], v[4:5]
	v_add_f64 v[6:7], v[82:83], v[6:7]
	;; [unrolled: 1-line block ×4, first 2 shown]
	v_fma_f64 v[76:77], v[166:167], s[30:31], v[162:163]
	v_fma_f64 v[78:79], v[188:189], s[30:31], -v[194:195]
	v_fma_f64 v[80:81], v[190:191], s[26:27], v[154:155]
	v_fma_f64 v[82:83], v[206:207], s[26:27], -v[158:159]
	v_mul_f64 v[168:169], v[233:234], s[48:49]
	v_mul_f64 v[192:193], v[229:230], s[48:49]
	v_add_f64 v[235:236], v[18:19], -v[30:31]
	v_add_f64 v[212:213], v[16:17], -v[28:29]
	s_mov_b32 s43, 0xbfe0d888
	s_mov_b32 s42, s36
	;; [unrolled: 1-line block ×4, first 2 shown]
	v_add_f64 v[4:5], v[76:77], v[4:5]
	v_add_f64 v[6:7], v[78:79], v[6:7]
	;; [unrolled: 1-line block ×4, first 2 shown]
	v_fma_f64 v[2:3], v[190:191], s[34:35], v[168:169]
	v_fma_f64 v[80:81], v[206:207], s[34:35], -v[192:193]
	v_add_f64 v[204:205], v[16:17], v[28:29]
	v_add_f64 v[217:218], v[18:19], v[30:31]
	v_mul_f64 v[176:177], v[235:236], s[42:43]
	v_mul_f64 v[178:179], v[212:213], s[42:43]
	;; [unrolled: 1-line block ×4, first 2 shown]
	v_add_f64 v[225:226], v[22:23], -v[26:27]
	v_add_f64 v[221:222], v[20:21], -v[24:25]
	s_mov_b32 s51, 0x3fd71e95
	s_mov_b32 s50, s18
	v_add_f64 v[4:5], v[2:3], v[4:5]
	v_add_f64 v[6:7], v[80:81], v[6:7]
	v_fma_f64 v[80:81], v[204:205], s[30:31], v[176:177]
	v_fma_f64 v[82:83], v[217:218], s[30:31], -v[178:179]
	v_fma_f64 v[84:85], v[204:205], s[20:21], v[0:1]
	v_fma_f64 v[86:87], v[217:218], s[20:21], -v[210:211]
	v_add_f64 v[219:220], v[20:21], v[24:25]
	v_add_f64 v[227:228], v[22:23], v[26:27]
	v_mul_f64 v[2:3], v[225:226], s[44:45]
	v_mul_f64 v[184:185], v[221:222], s[44:45]
	;; [unrolled: 1-line block ×4, first 2 shown]
	v_add_f64 v[76:77], v[80:81], v[76:77]
	v_add_f64 v[78:79], v[82:83], v[78:79]
	;; [unrolled: 1-line block ×4, first 2 shown]
	v_fma_f64 v[80:81], v[219:220], s[28:29], v[2:3]
	v_fma_f64 v[82:83], v[227:228], s[28:29], -v[184:185]
	v_fma_f64 v[84:85], v[219:220], s[4:5], v[186:187]
	v_fma_f64 v[86:87], v[227:228], s[4:5], -v[223:224]
	s_barrier
	v_add_f64 v[241:242], v[80:81], v[76:77]
	v_add_f64 v[243:244], v[82:83], v[78:79]
	;; [unrolled: 1-line block ×4, first 2 shown]
	s_mov_b64 s[22:23], exec
	s_and_b64 s[54:55], s[22:23], s[0:1]
	buffer_store_dword v201, off, s[64:67], 0 ; 4-byte Folded Spill
	buffer_store_dword v202, off, s[64:67], 0 offset:4 ; 4-byte Folded Spill
	s_mov_b64 exec, s[54:55]
	s_cbranch_execz .LBB0_7
; %bb.6:
	v_mul_f64 v[4:5], v[128:129], s[28:29]
	s_mov_b32 s55, 0x3fc7851a
	s_mov_b32 s54, s44
	v_mul_f64 v[80:81], v[144:145], s[4:5]
	v_mul_f64 v[82:83], v[164:165], s[44:45]
	buffer_store_dword v88, off, s[64:67], 0 offset:52 ; 4-byte Folded Spill
	s_nop 0
	buffer_store_dword v89, off, s[64:67], 0 offset:56 ; 4-byte Folded Spill
	buffer_store_dword v90, off, s[64:67], 0 offset:76 ; 4-byte Folded Spill
	s_nop 0
	buffer_store_dword v91, off, s[64:67], 0 offset:80 ; 4-byte Folded Spill
	;; [unrolled: 3-line block ×3, first 2 shown]
	v_fma_f64 v[84:85], v[148:149], s[54:55], v[4:5]
	buffer_store_dword v94, off, s[64:67], 0 offset:44 ; 4-byte Folded Spill
	s_nop 0
	buffer_store_dword v95, off, s[64:67], 0 offset:48 ; 4-byte Folded Spill
	v_mul_f64 v[88:89], v[152:153], s[30:31]
	v_mul_f64 v[90:91], v[182:183], s[50:51]
	v_fma_f64 v[92:93], v[160:161], s[18:19], v[80:81]
	v_fma_f64 v[94:95], v[120:121], s[28:29], v[82:83]
	;; [unrolled: 1-line block ×3, first 2 shown]
	v_mul_f64 v[96:97], v[174:175], s[8:9]
	v_add_f64 v[84:85], v[10:11], v[84:85]
	v_mul_f64 v[98:99], v[196:197], s[42:43]
	v_fma_f64 v[100:101], v[180:181], s[36:37], v[88:89]
	v_fma_f64 v[102:103], v[130:131], s[4:5], v[90:91]
	;; [unrolled: 1-line block ×3, first 2 shown]
	v_add_f64 v[94:95], v[8:9], v[94:95]
	v_add_f64 v[4:5], v[10:11], v[4:5]
	s_mov_b32 s57, 0x3fe58eea
	v_add_f64 v[84:85], v[92:93], v[84:85]
	s_mov_b32 s56, s24
	v_mul_f64 v[86:87], v[188:189], s[26:27]
	v_mul_f64 v[92:93], v[214:215], s[56:57]
	v_fma_f64 v[104:105], v[198:199], s[24:25], v[96:97]
	v_fma_f64 v[106:107], v[142:143], s[30:31], v[98:99]
	v_add_f64 v[94:95], v[102:103], v[94:95]
	v_fma_f64 v[88:89], v[180:181], s[42:43], v[88:89]
	v_add_f64 v[84:85], v[100:101], v[84:85]
	v_add_f64 v[4:5], v[80:81], v[4:5]
	s_mov_b32 s61, 0x3fe9895b
	s_mov_b32 s60, s40
	v_mul_f64 v[78:79], v[206:207], s[20:21]
	v_mul_f64 v[100:101], v[231:232], s[40:41]
	v_fma_f64 v[80:81], v[208:209], s[60:61], v[86:87]
	v_fma_f64 v[102:103], v[172:173], s[8:9], v[92:93]
	v_add_f64 v[94:95], v[106:107], v[94:95]
	v_add_f64 v[84:85], v[104:105], v[84:85]
	v_fma_f64 v[96:97], v[198:199], s[56:57], v[96:97]
	v_add_f64 v[4:5], v[88:89], v[4:5]
	v_fma_f64 v[82:83], v[120:121], s[28:29], -v[82:83]
	v_mul_f64 v[76:77], v[217:218], s[34:35]
	v_mul_f64 v[106:107], v[233:234], s[52:53]
	v_fma_f64 v[88:89], v[229:230], s[38:39], v[78:79]
	buffer_store_dword v200, off, s[64:67], 0 offset:40 ; 4-byte Folded Spill
	v_fma_f64 v[200:201], v[166:167], s[26:27], v[100:101]
	v_add_f64 v[94:95], v[102:103], v[94:95]
	v_add_f64 v[80:81], v[80:81], v[84:85]
	v_fma_f64 v[86:87], v[208:209], s[40:41], v[86:87]
	v_add_f64 v[4:5], v[96:97], v[4:5]
	v_fma_f64 v[90:91], v[130:131], s[4:5], -v[90:91]
	v_add_f64 v[82:83], v[8:9], v[82:83]
	v_mul_f64 v[104:105], v[235:236], s[46:47]
	v_fma_f64 v[96:97], v[212:213], s[48:49], v[76:77]
	v_fma_f64 v[102:103], v[190:191], s[20:21], v[106:107]
	v_add_f64 v[94:95], v[200:201], v[94:95]
	v_add_f64 v[80:81], v[88:89], v[80:81]
	v_fma_f64 v[78:79], v[229:230], s[52:53], v[78:79]
	v_add_f64 v[4:5], v[86:87], v[4:5]
	v_fma_f64 v[86:87], v[142:143], s[30:31], -v[98:99]
	v_add_f64 v[82:83], v[90:91], v[82:83]
	v_fma_f64 v[90:91], v[204:205], s[34:35], v[104:105]
	v_fma_f64 v[76:77], v[212:213], s[46:47], v[76:77]
	v_add_f64 v[94:95], v[102:103], v[94:95]
	s_mov_b32 s59, 0x3fefdd0d
	s_mov_b32 s58, s16
	v_add_f64 v[4:5], v[78:79], v[4:5]
	v_add_f64 v[78:79], v[96:97], v[80:81]
	v_fma_f64 v[80:81], v[172:173], s[8:9], -v[92:93]
	v_add_f64 v[82:83], v[86:87], v[82:83]
	v_mul_f64 v[6:7], v[227:228], s[10:11]
	v_mul_f64 v[88:89], v[225:226], s[58:59]
	;; [unrolled: 1-line block ×3, first 2 shown]
	v_add_f64 v[90:91], v[90:91], v[94:95]
	v_add_f64 v[4:5], v[76:77], v[4:5]
	v_mul_f64 v[94:95], v[164:165], s[42:43]
	v_fma_f64 v[76:77], v[166:167], s[26:27], -v[100:101]
	v_add_f64 v[80:81], v[80:81], v[82:83]
	v_fma_f64 v[84:85], v[221:222], s[16:17], v[6:7]
	v_fma_f64 v[86:87], v[219:220], s[10:11], v[88:89]
	v_mul_f64 v[96:97], v[144:145], s[20:21]
	v_fma_f64 v[82:83], v[148:149], s[36:37], v[92:93]
	v_mul_f64 v[98:99], v[182:183], s[52:53]
	v_fma_f64 v[100:101], v[120:121], s[30:31], v[94:95]
	v_fma_f64 v[102:103], v[190:191], s[20:21], -v[106:107]
	v_add_f64 v[80:81], v[76:77], v[80:81]
	v_add_f64 v[78:79], v[84:85], v[78:79]
	v_mul_f64 v[84:85], v[152:153], s[10:11]
	v_fma_f64 v[106:107], v[160:161], s[38:39], v[96:97]
	v_add_f64 v[82:83], v[10:11], v[82:83]
	v_add_f64 v[76:77], v[86:87], v[90:91]
	v_mul_f64 v[86:87], v[196:197], s[16:17]
	v_fma_f64 v[90:91], v[130:131], s[20:21], v[98:99]
	v_add_f64 v[100:101], v[8:9], v[100:101]
	v_fma_f64 v[104:105], v[204:205], s[34:35], -v[104:105]
	v_add_f64 v[80:81], v[102:103], v[80:81]
	v_fma_f64 v[6:7], v[221:222], s[58:59], v[6:7]
	v_fma_f64 v[102:103], v[180:181], s[58:59], v[84:85]
	v_add_f64 v[82:83], v[106:107], v[82:83]
	v_mul_f64 v[106:107], v[174:175], s[26:27]
	v_fma_f64 v[88:89], v[219:220], s[10:11], -v[88:89]
	v_fma_f64 v[200:201], v[142:143], s[10:11], v[86:87]
	v_add_f64 v[90:91], v[90:91], v[100:101]
	v_mul_f64 v[100:101], v[214:215], s[60:61]
	v_add_f64 v[80:81], v[104:105], v[80:81]
	v_mul_f64 v[104:105], v[188:189], s[4:5]
	v_add_f64 v[102:103], v[102:103], v[82:83]
	v_mov_b32_e32 v255, v203
	v_fma_f64 v[202:203], v[198:199], s[40:41], v[106:107]
	v_add_f64 v[82:83], v[6:7], v[4:5]
	v_fma_f64 v[4:5], v[148:149], s[42:43], v[92:93]
	v_add_f64 v[6:7], v[200:201], v[90:91]
	v_fma_f64 v[90:91], v[172:173], s[26:27], v[100:101]
	v_add_f64 v[80:81], v[88:89], v[80:81]
	v_mul_f64 v[88:89], v[231:232], s[18:19]
	v_fma_f64 v[92:93], v[208:209], s[50:51], v[104:105]
	v_add_f64 v[102:103], v[202:203], v[102:103]
	v_mul_f64 v[200:201], v[206:207], s[28:29]
	v_fma_f64 v[94:95], v[120:121], s[30:31], -v[94:95]
	v_fma_f64 v[96:97], v[160:161], s[52:53], v[96:97]
	v_add_f64 v[4:5], v[10:11], v[4:5]
	v_add_f64 v[6:7], v[90:91], v[6:7]
	v_fma_f64 v[90:91], v[166:167], s[4:5], v[88:89]
	v_fma_f64 v[98:99], v[130:131], s[20:21], -v[98:99]
	v_add_f64 v[92:93], v[92:93], v[102:103]
	v_mul_f64 v[102:103], v[233:234], s[44:45]
	v_add_f64 v[94:95], v[8:9], v[94:95]
	v_fma_f64 v[84:85], v[180:181], s[16:17], v[84:85]
	v_add_f64 v[4:5], v[96:97], v[4:5]
	v_fma_f64 v[96:97], v[229:230], s[54:55], v[200:201]
	v_add_f64 v[6:7], v[90:91], v[6:7]
	v_mul_f64 v[90:91], v[217:218], s[8:9]
	v_fma_f64 v[86:87], v[142:143], s[10:11], -v[86:87]
	v_mul_f64 v[202:203], v[235:236], s[56:57]
	v_add_f64 v[94:95], v[98:99], v[94:95]
	v_fma_f64 v[98:99], v[190:191], s[28:29], v[102:103]
	v_add_f64 v[4:5], v[84:85], v[4:5]
	v_add_f64 v[92:93], v[96:97], v[92:93]
	v_fma_f64 v[84:85], v[198:199], s[60:61], v[106:107]
	v_fma_f64 v[96:97], v[212:213], s[24:25], v[90:91]
	v_fma_f64 v[100:101], v[172:173], s[26:27], -v[100:101]
	v_fma_f64 v[104:105], v[208:209], s[18:19], v[104:105]
	v_add_f64 v[86:87], v[86:87], v[94:95]
	v_add_f64 v[6:7], v[98:99], v[6:7]
	v_mul_f64 v[98:99], v[227:228], s[34:35]
	v_mul_f64 v[94:95], v[225:226], s[46:47]
	v_add_f64 v[4:5], v[84:85], v[4:5]
	v_add_f64 v[92:93], v[96:97], v[92:93]
	v_fma_f64 v[96:97], v[204:205], s[8:9], v[202:203]
	v_fma_f64 v[88:89], v[166:167], s[4:5], -v[88:89]
	v_add_f64 v[86:87], v[100:101], v[86:87]
	v_fma_f64 v[106:107], v[229:230], s[44:45], v[200:201]
	v_fma_f64 v[84:85], v[221:222], s[48:49], v[98:99]
	;; [unrolled: 1-line block ×3, first 2 shown]
	v_add_f64 v[4:5], v[104:105], v[4:5]
	v_fma_f64 v[102:103], v[190:191], s[28:29], -v[102:103]
	v_add_f64 v[6:7], v[96:97], v[6:7]
	v_mul_f64 v[96:97], v[128:129], s[26:27]
	v_add_f64 v[88:89], v[88:89], v[86:87]
	v_fma_f64 v[90:91], v[212:213], s[56:57], v[90:91]
	v_add_f64 v[86:87], v[84:85], v[92:93]
	v_mul_f64 v[104:105], v[152:153], s[4:5]
	v_add_f64 v[4:5], v[106:107], v[4:5]
	v_fma_f64 v[98:99], v[221:222], s[46:47], v[98:99]
	v_add_f64 v[84:85], v[100:101], v[6:7]
	v_mul_f64 v[6:7], v[144:145], s[34:35]
	v_fma_f64 v[92:93], v[148:149], s[60:61], v[96:97]
	v_fma_f64 v[100:101], v[204:205], s[8:9], -v[202:203]
	v_add_f64 v[88:89], v[102:103], v[88:89]
	v_mul_f64 v[102:103], v[164:165], s[40:41]
	v_add_f64 v[4:5], v[90:91], v[4:5]
	v_fma_f64 v[94:95], v[219:220], s[34:35], -v[94:95]
	v_fma_f64 v[202:203], v[180:181], s[50:51], v[104:105]
	v_fma_f64 v[106:107], v[160:161], s[46:47], v[6:7]
	v_add_f64 v[92:93], v[10:11], v[92:93]
	v_fma_f64 v[96:97], v[148:149], s[40:41], v[96:97]
	v_add_f64 v[88:89], v[100:101], v[88:89]
	v_mul_f64 v[100:101], v[182:183], s[48:49]
	v_fma_f64 v[200:201], v[120:121], s[26:27], v[102:103]
	v_add_f64 v[90:91], v[98:99], v[4:5]
	v_mul_f64 v[4:5], v[196:197], s[18:19]
	;; [unrolled: 3-line block ×3, first 2 shown]
	v_add_f64 v[88:89], v[94:95], v[88:89]
	v_fma_f64 v[94:95], v[130:131], s[34:35], v[100:101]
	v_add_f64 v[98:99], v[8:9], v[200:201]
	v_add_f64 v[96:97], v[10:11], v[96:97]
	buffer_store_dword v237, off, s[64:67], 0 offset:8 ; 4-byte Folded Spill
	s_nop 0
	buffer_store_dword v238, off, s[64:67], 0 offset:12 ; 4-byte Folded Spill
	buffer_store_dword v239, off, s[64:67], 0 offset:16 ; 4-byte Folded Spill
	;; [unrolled: 1-line block ×3, first 2 shown]
	v_fma_f64 v[100:101], v[130:131], s[34:35], -v[100:101]
	v_add_f64 v[92:93], v[202:203], v[92:93]
	v_fma_f64 v[200:201], v[198:199], s[36:37], v[106:107]
	buffer_store_dword v241, off, s[64:67], 0 offset:24 ; 4-byte Folded Spill
	s_nop 0
	buffer_store_dword v242, off, s[64:67], 0 offset:28 ; 4-byte Folded Spill
	buffer_store_dword v243, off, s[64:67], 0 offset:32 ; 4-byte Folded Spill
	;; [unrolled: 1-line block ×3, first 2 shown]
	v_mul_f64 v[247:248], v[227:228], s[20:21]
	v_add_f64 v[94:95], v[94:95], v[98:99]
	v_fma_f64 v[98:99], v[142:143], s[4:5], v[4:5]
	v_add_f64 v[6:7], v[6:7], v[96:97]
	v_fma_f64 v[96:97], v[180:181], s[18:19], v[104:105]
	v_fma_f64 v[4:5], v[142:143], s[4:5], -v[4:5]
	v_add_f64 v[92:93], v[200:201], v[92:93]
	v_mul_f64 v[200:201], v[188:189], s[10:11]
	v_mul_f64 v[104:105], v[128:129], s[34:35]
	;; [unrolled: 1-line block ×3, first 2 shown]
	v_add_f64 v[94:95], v[98:99], v[94:95]
	v_mov_b32_e32 v216, v245
	v_add_f64 v[6:7], v[96:97], v[6:7]
	v_fma_f64 v[96:97], v[198:199], s[42:43], v[106:107]
	v_mul_f64 v[106:107], v[144:145], s[30:31]
	v_fma_f64 v[98:99], v[208:209], s[16:17], v[200:201]
	v_mul_f64 v[251:252], v[233:234], s[58:59]
	v_mul_f64 v[253:254], v[235:236], s[18:19]
	;; [unrolled: 1-line block ×5, first 2 shown]
	v_add_f64 v[6:7], v[96:97], v[6:7]
	v_fma_f64 v[96:97], v[208:209], s[58:59], v[200:201]
	v_add_f64 v[92:93], v[98:99], v[92:93]
	v_mul_f64 v[98:99], v[214:215], s[42:43]
	v_mul_f64 v[200:201], v[152:153], s[8:9]
	v_add_f64 v[6:7], v[96:97], v[6:7]
	v_fma_f64 v[202:203], v[172:173], s[30:31], v[98:99]
	v_fma_f64 v[98:99], v[172:173], s[30:31], -v[98:99]
	v_add_f64 v[94:95], v[202:203], v[94:95]
	v_mul_f64 v[202:203], v[206:207], s[8:9]
	v_fma_f64 v[96:97], v[229:230], s[24:25], v[202:203]
	v_fma_f64 v[237:238], v[229:230], s[56:57], v[202:203]
	v_mul_f64 v[202:203], v[174:175], s[20:21]
	v_add_f64 v[6:7], v[96:97], v[6:7]
	v_fma_f64 v[96:97], v[120:121], s[26:27], -v[102:103]
	v_add_f64 v[92:93], v[237:238], v[92:93]
	v_mul_f64 v[237:238], v[231:232], s[58:59]
	v_fma_f64 v[102:103], v[219:220], s[20:21], -v[249:250]
	v_add_f64 v[96:97], v[8:9], v[96:97]
	v_fma_f64 v[239:240], v[166:167], s[10:11], v[237:238]
	v_add_f64 v[96:97], v[100:101], v[96:97]
	v_add_f64 v[94:95], v[239:240], v[94:95]
	v_mul_f64 v[239:240], v[217:218], s[28:29]
	v_add_f64 v[4:5], v[4:5], v[96:97]
	v_fma_f64 v[96:97], v[148:149], s[48:49], v[104:105]
	v_fma_f64 v[104:105], v[148:149], s[46:47], v[104:105]
	v_fma_f64 v[241:242], v[212:213], s[54:55], v[239:240]
	v_fma_f64 v[100:101], v[212:213], s[44:45], v[239:240]
	v_mul_f64 v[239:240], v[217:218], s[4:5]
	v_add_f64 v[4:5], v[98:99], v[4:5]
	v_add_f64 v[96:97], v[10:11], v[96:97]
	v_fma_f64 v[98:99], v[160:161], s[42:43], v[106:107]
	v_add_f64 v[92:93], v[241:242], v[92:93]
	v_mul_f64 v[241:242], v[233:234], s[24:25]
	v_add_f64 v[6:7], v[100:101], v[6:7]
	v_fma_f64 v[106:107], v[160:161], s[36:37], v[106:107]
	v_add_f64 v[104:105], v[10:11], v[104:105]
	v_add_f64 v[96:97], v[98:99], v[96:97]
	v_fma_f64 v[98:99], v[166:167], s[10:11], -v[237:238]
	v_fma_f64 v[243:244], v[190:191], s[8:9], v[241:242]
	v_mul_f64 v[237:238], v[206:207], s[10:11]
	v_add_f64 v[104:105], v[106:107], v[104:105]
	v_fma_f64 v[106:107], v[180:181], s[56:57], v[200:201]
	v_add_f64 v[4:5], v[98:99], v[4:5]
	v_fma_f64 v[98:99], v[180:181], s[24:25], v[200:201]
	v_add_f64 v[94:95], v[243:244], v[94:95]
	v_mul_f64 v[243:244], v[235:236], s[44:45]
	v_mul_f64 v[200:201], v[188:189], s[20:21]
	v_add_f64 v[104:105], v[106:107], v[104:105]
	v_add_f64 v[100:101], v[98:99], v[96:97]
	v_fma_f64 v[96:97], v[190:191], s[8:9], -v[241:242]
	v_fma_f64 v[98:99], v[221:222], s[52:53], v[247:248]
	v_fma_f64 v[245:246], v[204:205], s[28:29], v[243:244]
	v_mul_f64 v[241:242], v[164:165], s[46:47]
	v_add_f64 v[4:5], v[96:97], v[4:5]
	v_fma_f64 v[96:97], v[204:205], s[28:29], -v[243:244]
	v_add_f64 v[98:99], v[98:99], v[6:7]
	v_mul_f64 v[6:7], v[188:189], s[28:29]
	v_add_f64 v[245:246], v[245:246], v[94:95]
	v_fma_f64 v[94:95], v[221:222], s[38:39], v[247:248]
	v_mul_f64 v[243:244], v[182:183], s[36:37]
	v_mul_f64 v[247:248], v[214:215], s[38:39]
	v_fma_f64 v[106:107], v[120:121], s[34:35], -v[241:242]
	v_add_f64 v[4:5], v[96:97], v[4:5]
	v_add_f64 v[94:95], v[94:95], v[92:93]
	v_fma_f64 v[92:93], v[219:220], s[20:21], v[249:250]
	v_mul_f64 v[249:250], v[231:232], s[44:45]
	v_add_f64 v[106:107], v[8:9], v[106:107]
	v_add_f64 v[96:97], v[102:103], v[4:5]
	v_fma_f64 v[4:5], v[198:199], s[52:53], v[202:203]
	v_fma_f64 v[102:103], v[130:131], s[30:31], v[243:244]
	v_add_f64 v[92:93], v[92:93], v[245:246]
	v_mul_f64 v[245:246], v[196:197], s[56:57]
	v_add_f64 v[4:5], v[4:5], v[100:101]
	v_fma_f64 v[100:101], v[208:209], s[54:55], v[6:7]
	v_fma_f64 v[6:7], v[208:209], s[44:45], v[6:7]
	v_add_f64 v[4:5], v[100:101], v[4:5]
	v_fma_f64 v[100:101], v[229:230], s[16:17], v[237:238]
	v_add_f64 v[4:5], v[100:101], v[4:5]
	;; [unrolled: 2-line block ×3, first 2 shown]
	v_fma_f64 v[100:101], v[120:121], s[34:35], v[241:242]
	v_mul_f64 v[241:242], v[182:183], s[44:45]
	v_add_f64 v[100:101], v[8:9], v[100:101]
	v_add_f64 v[100:101], v[102:103], v[100:101]
	v_fma_f64 v[102:103], v[142:143], s[8:9], v[245:246]
	v_add_f64 v[100:101], v[102:103], v[100:101]
	v_fma_f64 v[102:103], v[172:173], s[20:21], v[247:248]
	;; [unrolled: 2-line block ×6, first 2 shown]
	v_fma_f64 v[108:109], v[221:222], s[40:41], v[108:109]
	v_add_f64 v[102:103], v[102:103], v[4:5]
	v_mul_f64 v[4:5], v[225:226], s[40:41]
	v_fma_f64 v[110:111], v[219:220], s[26:27], v[4:5]
	v_fma_f64 v[4:5], v[219:220], s[26:27], -v[4:5]
	v_add_f64 v[100:101], v[110:111], v[100:101]
	v_fma_f64 v[110:111], v[130:131], s[30:31], -v[243:244]
	v_fma_f64 v[243:244], v[130:131], s[28:29], v[241:242]
	v_add_f64 v[106:107], v[110:111], v[106:107]
	v_fma_f64 v[110:111], v[142:143], s[8:9], -v[245:246]
	v_add_f64 v[106:107], v[110:111], v[106:107]
	v_fma_f64 v[110:111], v[198:199], s[38:39], v[202:203]
	v_mul_f64 v[202:203], v[206:207], s[30:31]
	v_add_f64 v[104:105], v[110:111], v[104:105]
	v_fma_f64 v[110:111], v[172:173], s[20:21], -v[247:248]
	v_add_f64 v[6:7], v[6:7], v[104:105]
	v_add_f64 v[106:107], v[110:111], v[106:107]
	v_fma_f64 v[104:105], v[166:167], s[28:29], -v[249:250]
	v_mul_f64 v[110:111], v[128:129], s[10:11]
	v_add_f64 v[104:105], v[104:105], v[106:107]
	v_fma_f64 v[106:107], v[229:230], s[58:59], v[237:238]
	v_mul_f64 v[237:238], v[217:218], s[26:27]
	v_add_f64 v[6:7], v[106:107], v[6:7]
	v_fma_f64 v[106:107], v[190:191], s[10:11], -v[251:252]
	v_add_f64 v[104:105], v[106:107], v[104:105]
	v_fma_f64 v[106:107], v[212:213], s[18:19], v[239:240]
	v_mul_f64 v[239:240], v[164:165], s[16:17]
	v_add_f64 v[6:7], v[106:107], v[6:7]
	v_fma_f64 v[106:107], v[204:205], s[4:5], -v[253:254]
	v_add_f64 v[104:105], v[106:107], v[104:105]
	v_add_f64 v[106:107], v[108:109], v[6:7]
	;; [unrolled: 1-line block ×3, first 2 shown]
	v_mul_f64 v[68:69], v[144:145], s[28:29]
	v_mul_f64 v[108:109], v[174:175], s[4:5]
	v_add_f64 v[104:105], v[4:5], v[104:105]
	v_add_f64 v[4:5], v[10:11], v[70:71]
	v_fma_f64 v[70:71], v[148:149], s[58:59], v[110:111]
	v_add_f64 v[72:73], v[6:7], v[72:73]
	v_add_f64 v[74:75], v[4:5], v[74:75]
	v_fma_f64 v[4:5], v[160:161], s[54:55], v[68:69]
	v_add_f64 v[6:7], v[10:11], v[70:71]
	v_mul_f64 v[70:71], v[152:153], s[34:35]
	v_add_f64 v[72:73], v[72:73], v[64:65]
	v_fma_f64 v[64:65], v[148:149], s[16:17], v[110:111]
	v_mul_f64 v[110:111], v[128:129], s[20:21]
	v_add_f64 v[74:75], v[74:75], v[66:67]
	v_fma_f64 v[66:67], v[160:161], s[44:45], v[68:69]
	v_add_f64 v[4:5], v[4:5], v[6:7]
	v_fma_f64 v[6:7], v[180:181], s[46:47], v[70:71]
	v_fma_f64 v[68:69], v[130:131], s[28:29], -v[241:242]
	v_add_f64 v[64:65], v[10:11], v[64:65]
	v_add_f64 v[56:57], v[72:73], v[56:57]
	v_mul_f64 v[72:73], v[182:183], s[40:41]
	v_add_f64 v[58:59], v[74:75], v[58:59]
	v_mul_f64 v[182:183], v[231:232], s[56:57]
	v_add_f64 v[4:5], v[6:7], v[4:5]
	v_fma_f64 v[6:7], v[198:199], s[18:19], v[108:109]
	v_add_f64 v[64:65], v[66:67], v[64:65]
	v_fma_f64 v[66:67], v[180:181], s[48:49], v[70:71]
	v_fma_f64 v[70:71], v[221:222], s[56:57], v[112:113]
	v_add_f64 v[58:59], v[58:59], v[62:63]
	v_add_f64 v[56:57], v[56:57], v[60:61]
	v_fma_f64 v[60:61], v[130:131], s[26:27], v[72:73]
	v_fma_f64 v[72:73], v[130:131], s[26:27], -v[72:73]
	v_add_f64 v[4:5], v[6:7], v[4:5]
	v_fma_f64 v[6:7], v[208:209], s[52:53], v[200:201]
	v_add_f64 v[64:65], v[66:67], v[64:65]
	v_fma_f64 v[66:67], v[198:199], s[50:51], v[108:109]
	v_fma_f64 v[108:109], v[219:220], s[8:9], -v[114:115]
	v_add_f64 v[14:15], v[58:59], v[14:15]
	v_add_f64 v[12:13], v[56:57], v[12:13]
	;; [unrolled: 1-line block ×3, first 2 shown]
	v_fma_f64 v[6:7], v[229:230], s[36:37], v[202:203]
	v_add_f64 v[64:65], v[66:67], v[64:65]
	v_fma_f64 v[66:67], v[208:209], s[38:39], v[200:201]
	v_mul_f64 v[200:201], v[235:236], s[16:17]
	v_add_f64 v[14:15], v[14:15], v[18:19]
	v_add_f64 v[12:13], v[12:13], v[16:17]
	;; [unrolled: 1-line block ×3, first 2 shown]
	v_fma_f64 v[6:7], v[212:213], s[40:41], v[237:238]
	v_add_f64 v[64:65], v[66:67], v[64:65]
	v_fma_f64 v[66:67], v[229:230], s[42:43], v[202:203]
	v_fma_f64 v[16:17], v[204:205], s[10:11], -v[200:201]
	v_add_f64 v[14:15], v[14:15], v[22:23]
	v_add_f64 v[12:13], v[12:13], v[20:21]
	v_mul_f64 v[202:203], v[120:121], s[8:9]
	v_add_f64 v[4:5], v[6:7], v[4:5]
	v_fma_f64 v[6:7], v[120:121], s[10:11], v[239:240]
	v_add_f64 v[64:65], v[66:67], v[64:65]
	v_fma_f64 v[66:67], v[212:213], s[60:61], v[237:238]
	v_add_f64 v[14:15], v[14:15], v[26:27]
	v_add_f64 v[12:13], v[12:13], v[24:25]
	;; [unrolled: 1-line block ×4, first 2 shown]
	v_fma_f64 v[66:67], v[120:121], s[10:11], -v[239:240]
	buffer_load_dword v237, off, s[64:67], 0 offset:8 ; 4-byte Folded Reload
	buffer_load_dword v238, off, s[64:67], 0 offset:12 ; 4-byte Folded Reload
	;; [unrolled: 1-line block ×4, first 2 shown]
	v_add_f64 v[14:15], v[14:15], v[30:31]
	v_add_f64 v[12:13], v[12:13], v[28:29]
	;; [unrolled: 1-line block ×3, first 2 shown]
	v_mul_f64 v[243:244], v[196:197], s[48:49]
	v_add_f64 v[66:67], v[8:9], v[66:67]
	v_add_f64 v[14:15], v[14:15], v[34:35]
	;; [unrolled: 1-line block ×3, first 2 shown]
	v_fma_f64 v[245:246], v[142:143], s[34:35], v[243:244]
	v_add_f64 v[66:67], v[68:69], v[66:67]
	v_fma_f64 v[68:69], v[142:143], s[34:35], -v[243:244]
	buffer_load_dword v241, off, s[64:67], 0 offset:24 ; 4-byte Folded Reload
	buffer_load_dword v242, off, s[64:67], 0 offset:28 ; 4-byte Folded Reload
	;; [unrolled: 1-line block ×4, first 2 shown]
	v_add_f64 v[14:15], v[14:15], v[38:39]
	v_add_f64 v[12:13], v[12:13], v[36:37]
	;; [unrolled: 1-line block ×3, first 2 shown]
	v_mul_f64 v[245:246], v[214:215], s[50:51]
	v_add_f64 v[66:67], v[68:69], v[66:67]
	v_add_f64 v[14:15], v[14:15], v[42:43]
	;; [unrolled: 1-line block ×3, first 2 shown]
	v_fma_f64 v[247:248], v[172:173], s[4:5], v[245:246]
	v_fma_f64 v[68:69], v[172:173], s[4:5], -v[245:246]
	v_mov_b32_e32 v245, v216
	v_add_f64 v[14:15], v[14:15], v[46:47]
	v_add_f64 v[12:13], v[12:13], v[44:45]
	;; [unrolled: 1-line block ×3, first 2 shown]
	v_mul_f64 v[247:248], v[231:232], s[38:39]
	v_add_f64 v[66:67], v[68:69], v[66:67]
	v_add_f64 v[32:33], v[14:15], v[50:51]
	v_add_f64 v[12:13], v[12:13], v[48:49]
	v_fma_f64 v[249:250], v[166:167], s[20:21], v[247:248]
	v_fma_f64 v[68:69], v[166:167], s[20:21], -v[247:248]
	v_add_f64 v[6:7], v[249:250], v[6:7]
	v_mul_f64 v[249:250], v[233:234], s[42:43]
	v_add_f64 v[66:67], v[68:69], v[66:67]
	v_fma_f64 v[251:252], v[190:191], s[30:31], v[249:250]
	v_fma_f64 v[68:69], v[190:191], s[30:31], -v[249:250]
	v_add_f64 v[6:7], v[251:252], v[6:7]
	v_mul_f64 v[251:252], v[235:236], s[60:61]
	v_add_f64 v[66:67], v[68:69], v[66:67]
	v_fma_f64 v[253:254], v[204:205], s[26:27], v[251:252]
	v_fma_f64 v[68:69], v[204:205], s[26:27], -v[251:252]
	v_add_f64 v[253:254], v[253:254], v[6:7]
	v_fma_f64 v[6:7], v[221:222], s[24:25], v[112:113]
	v_add_f64 v[68:69], v[68:69], v[66:67]
	v_mul_f64 v[112:113], v[164:165], s[38:39]
	v_add_f64 v[66:67], v[70:71], v[64:65]
	v_fma_f64 v[70:71], v[148:149], s[52:53], v[110:111]
	v_fma_f64 v[110:111], v[148:149], s[38:39], v[110:111]
	v_mul_f64 v[164:165], v[214:215], s[48:49]
	v_mul_f64 v[214:215], v[217:218], s[20:21]
	v_add_f64 v[6:7], v[6:7], v[4:5]
	v_add_f64 v[64:65], v[108:109], v[68:69]
	v_mul_f64 v[68:69], v[144:145], s[26:27]
	v_fma_f64 v[74:75], v[120:121], s[20:21], v[112:113]
	v_fma_f64 v[4:5], v[219:220], s[8:9], v[114:115]
	v_add_f64 v[70:71], v[10:11], v[70:71]
	v_mul_f64 v[114:115], v[196:197], s[54:55]
	v_add_f64 v[110:111], v[10:11], v[110:111]
	v_fma_f64 v[112:113], v[120:121], s[20:21], -v[112:113]
	v_mul_f64 v[196:197], v[233:234], s[18:19]
	v_fma_f64 v[108:109], v[160:161], s[60:61], v[68:69]
	v_add_f64 v[62:63], v[8:9], v[74:75]
	v_mul_f64 v[74:75], v[152:153], s[28:29]
	v_fma_f64 v[68:69], v[160:161], s[40:41], v[68:69]
	v_fma_f64 v[148:149], v[142:143], s[28:29], v[114:115]
	v_mul_f64 v[160:161], v[188:189], s[8:9]
	v_add_f64 v[112:113], v[8:9], v[112:113]
	v_fma_f64 v[114:115], v[142:143], s[28:29], -v[114:115]
	v_add_f64 v[70:71], v[108:109], v[70:71]
	v_mul_f64 v[108:109], v[174:175], s[34:35]
	v_add_f64 v[60:61], v[60:61], v[62:63]
	v_fma_f64 v[62:63], v[180:181], s[44:45], v[74:75]
	v_fma_f64 v[74:75], v[180:181], s[54:55], v[74:75]
	v_add_f64 v[68:69], v[68:69], v[110:111]
	v_mul_f64 v[110:111], v[217:218], s[10:11]
	v_fma_f64 v[180:181], v[166:167], s[8:9], v[182:183]
	v_add_f64 v[72:73], v[72:73], v[112:113]
	v_fma_f64 v[58:59], v[190:191], s[4:5], -v[196:197]
	v_add_f64 v[60:61], v[148:149], v[60:61]
	v_add_f64 v[62:63], v[62:63], v[70:71]
	v_fma_f64 v[70:71], v[198:199], s[46:47], v[108:109]
	v_fma_f64 v[148:149], v[172:173], s[34:35], v[164:165]
	v_add_f64 v[68:69], v[74:75], v[68:69]
	v_mul_f64 v[74:75], v[128:129], s[4:5]
	v_mul_f64 v[128:129], v[128:129], s[8:9]
	v_fma_f64 v[108:109], v[198:199], s[48:49], v[108:109]
	v_fma_f64 v[164:165], v[172:173], s[34:35], -v[164:165]
	v_add_f64 v[72:73], v[114:115], v[72:73]
	v_add_f64 v[62:63], v[70:71], v[62:63]
	v_mul_f64 v[70:71], v[206:207], s[4:5]
	v_add_f64 v[60:61], v[148:149], v[60:61]
	v_fma_f64 v[148:149], v[208:209], s[24:25], v[160:161]
	v_add_f64 v[128:129], v[136:137], v[128:129]
	v_add_f64 v[68:69], v[108:109], v[68:69]
	v_mul_f64 v[108:109], v[130:131], s[8:9]
	v_add_f64 v[72:73], v[164:165], v[72:73]
	v_fma_f64 v[160:161], v[208:209], s[56:57], v[160:161]
	v_mul_f64 v[198:199], v[120:121], s[4:5]
	v_add_f64 v[60:61], v[180:181], v[60:61]
	v_add_f64 v[62:63], v[148:149], v[62:63]
	v_fma_f64 v[148:149], v[229:230], s[50:51], v[70:71]
	v_fma_f64 v[180:181], v[190:191], s[4:5], v[196:197]
	v_add_f64 v[128:129], v[10:11], v[128:129]
	v_fma_f64 v[70:71], v[229:230], s[18:19], v[70:71]
	v_add_f64 v[68:69], v[160:161], v[68:69]
	v_mul_f64 v[160:161], v[152:153], s[20:21]
	v_mul_f64 v[152:153], v[152:153], s[26:27]
	;; [unrolled: 1-line block ×3, first 2 shown]
	v_add_f64 v[62:63], v[148:149], v[62:63]
	v_fma_f64 v[148:149], v[212:213], s[58:59], v[110:111]
	v_add_f64 v[60:61], v[180:181], v[60:61]
	v_fma_f64 v[180:181], v[204:205], s[10:11], v[200:201]
	buffer_load_dword v201, off, s[64:67], 0 ; 4-byte Folded Reload
	buffer_load_dword v200, off, s[64:67], 0 offset:40 ; 4-byte Folded Reload
	v_fma_f64 v[110:111], v[212:213], s[16:17], v[110:111]
	v_add_f64 v[152:153], v[156:157], v[152:153]
	v_mul_f64 v[156:157], v[188:189], s[34:35]
	v_mul_f64 v[188:189], v[188:189], s[30:31]
	v_add_f64 v[62:63], v[148:149], v[62:63]
	v_mul_f64 v[148:149], v[144:145], s[8:9]
	v_mul_f64 v[144:145], v[144:145], s[10:11]
	;; [unrolled: 3-line block ×3, first 2 shown]
	v_add_f64 v[68:69], v[70:71], v[68:69]
	v_add_f64 v[188:189], v[194:195], v[188:189]
	v_mul_f64 v[136:137], v[142:143], s[26:27]
	v_add_f64 v[116:117], v[116:117], v[148:149]
	v_add_f64 v[140:141], v[140:141], v[144:145]
	v_mul_f64 v[144:145], v[174:175], s[10:11]
	v_mul_f64 v[174:175], v[174:175], s[28:29]
	v_mul_f64 v[120:121], v[172:173], s[10:11]
	v_add_f64 v[68:69], v[110:111], v[68:69]
	v_add_f64 v[110:111], v[210:211], v[214:215]
	;; [unrolled: 1-line block ×3, first 2 shown]
	v_add_f64 v[26:27], v[208:209], -v[122:123]
	v_add_f64 v[128:129], v[140:141], v[128:129]
	v_mul_f64 v[140:141], v[166:167], s[30:31]
	v_fma_f64 v[166:167], v[166:167], s[8:9], -v[182:183]
	v_add_f64 v[170:171], v[170:171], v[174:175]
	v_mul_f64 v[172:173], v[172:173], s[28:29]
	v_add_f64 v[30:31], v[134:135], v[144:145]
	v_mul_f64 v[112:113], v[190:191], s[26:27]
	v_mul_f64 v[142:143], v[206:207], s[26:27]
	v_add_f64 v[128:129], v[152:153], v[128:129]
	v_mul_f64 v[152:153], v[206:207], s[34:35]
	v_add_f64 v[72:73], v[166:167], v[72:73]
	v_mul_f64 v[174:175], v[190:191], s[34:35]
	v_add_f64 v[28:29], v[172:173], -v[138:139]
	v_mul_f64 v[206:207], v[204:205], s[30:31]
	v_mul_f64 v[114:115], v[217:218], s[30:31]
	;; [unrolled: 1-line block ×3, first 2 shown]
	v_add_f64 v[128:129], v[170:171], v[128:129]
	v_add_f64 v[152:153], v[192:193], v[152:153]
	;; [unrolled: 1-line block ×3, first 2 shown]
	buffer_load_dword v72, off, s[64:67], 0 offset:76 ; 4-byte Folded Reload
	buffer_load_dword v73, off, s[64:67], 0 offset:80 ; 4-byte Folded Reload
	;; [unrolled: 1-line block ×6, first 2 shown]
	v_mul_f64 v[170:171], v[219:220], s[28:29]
	v_mul_f64 v[182:183], v[227:228], s[28:29]
	v_add_f64 v[128:129], v[188:189], v[128:129]
	v_mul_f64 v[217:218], v[225:226], s[42:43]
	v_mul_f64 v[164:165], v[219:220], s[4:5]
	;; [unrolled: 1-line block ×3, first 2 shown]
	v_add_f64 v[0:1], v[194:195], -v[0:1]
	v_mul_f64 v[212:213], v[227:228], s[30:31]
	v_add_f64 v[4:5], v[4:5], v[253:254]
	v_add_f64 v[128:129], v[152:153], v[128:129]
	v_fma_f64 v[152:153], v[219:220], s[30:31], -v[217:218]
	v_fma_f64 v[192:193], v[219:220], s[30:31], v[217:218]
	v_add_f64 v[58:59], v[223:224], v[225:226]
	v_fma_f64 v[56:57], v[221:222], s[42:43], v[212:213]
	v_fma_f64 v[70:71], v[221:222], s[36:37], v[212:213]
	s_waitcnt vmcnt(4)
	v_add_f64 v[72:73], v[72:73], v[74:75]
	s_waitcnt vmcnt(2)
	v_add_f64 v[20:21], v[198:199], -v[20:21]
	s_waitcnt vmcnt(0)
	v_add_f64 v[22:23], v[202:203], -v[22:23]
	buffer_load_dword v202, off, s[64:67], 0 offset:4 ; 4-byte Folded Reload
	v_add_f64 v[74:75], v[110:111], v[128:129]
	v_add_f64 v[110:111], v[180:181], -v[118:119]
	v_mov_b32_e32 v203, v255
	v_add_f64 v[10:11], v[10:11], v[72:73]
	buffer_load_dword v72, off, s[64:67], 0 offset:44 ; 4-byte Folded Reload
	buffer_load_dword v73, off, s[64:67], 0 offset:48 ; 4-byte Folded Reload
	v_add_f64 v[20:21], v[8:9], v[20:21]
	v_add_f64 v[8:9], v[8:9], v[22:23]
	v_add_f64 v[22:23], v[136:137], -v[126:127]
	v_add_f64 v[10:11], v[116:117], v[10:11]
	v_add_f64 v[8:9], v[110:111], v[8:9]
	;; [unrolled: 1-line block ×3, first 2 shown]
	v_add_f64 v[24:25], v[120:121], -v[132:133]
	v_add_f64 v[8:9], v[22:23], v[8:9]
	v_add_f64 v[22:23], v[140:141], -v[162:163]
	v_add_f64 v[10:11], v[30:31], v[10:11]
	;; [unrolled: 2-line block ×3, first 2 shown]
	v_add_f64 v[28:29], v[158:159], v[142:143]
	v_add_f64 v[8:9], v[22:23], v[8:9]
	;; [unrolled: 1-line block ×3, first 2 shown]
	s_waitcnt vmcnt(0)
	v_add_f64 v[72:73], v[108:109], -v[72:73]
	v_add_f64 v[20:21], v[72:73], v[20:21]
	v_add_f64 v[20:21], v[26:27], v[20:21]
	;; [unrolled: 1-line block ×5, first 2 shown]
	v_add_f64 v[26:27], v[112:113], -v[154:155]
	v_add_f64 v[24:25], v[174:175], -v[168:169]
	v_add_f64 v[20:21], v[30:31], v[20:21]
	v_add_f64 v[10:11], v[28:29], v[10:11]
	v_add_f64 v[28:29], v[206:207], -v[176:177]
	v_add_f64 v[8:9], v[24:25], v[8:9]
	v_add_f64 v[30:31], v[170:171], -v[2:3]
	v_add_f64 v[24:25], v[164:165], -v[186:187]
	v_add_f64 v[2:3], v[56:57], v[68:69]
	v_add_f64 v[20:21], v[26:27], v[20:21]
	;; [unrolled: 1-line block ×12, first 2 shown]
	v_mul_lo_u16_e32 v24, 17, v201
	v_add_lshl_u32 v24, v202, v24, 4
	v_add_f64 v[12:13], v[30:31], v[20:21]
	v_add_f64 v[0:1], v[152:153], v[28:29]
	;; [unrolled: 1-line block ×4, first 2 shown]
	ds_write_b128 v24, v[16:19]
	ds_write_b128 v24, v[12:15] offset:16
	ds_write_b128 v24, v[8:11] offset:32
	;; [unrolled: 1-line block ×16, first 2 shown]
.LBB0_7:
	s_or_b64 exec, exec, s[22:23]
	s_movk_i32 s8, 0x66
	v_add_co_u32_e32 v1, vcc, s8, v201
	s_movk_i32 s8, 0x99
	v_add_co_u32_e32 v2, vcc, s8, v201
	;; [unrolled: 2-line block ×3, first 2 shown]
	v_add_co_u32_e32 v3, vcc, s8, v201
	s_movk_i32 s8, 0xf1
	v_mul_lo_u16_sdwa v5, v0, s8 dst_sel:DWORD dst_unused:UNUSED_PAD src0_sel:BYTE_0 src1_sel:DWORD
	v_lshrrev_b16_e32 v14, 12, v5
	v_mul_lo_u16_e32 v5, 17, v14
	v_sub_u16_e32 v15, v0, v5
	v_mov_b32_e32 v5, 5
	v_lshlrev_b32_sdwa v6, v5, v15 dst_sel:DWORD dst_unused:UNUSED_PAD src0_sel:DWORD src1_sel:BYTE_0
	s_load_dwordx4 s[4:7], s[6:7], 0x0
	s_waitcnt vmcnt(0) lgkmcnt(0)
	s_barrier
	global_load_dwordx4 v[34:37], v6, s[2:3] offset:16
	global_load_dwordx4 v[24:27], v6, s[2:3]
	v_mul_lo_u16_sdwa v6, v1, s8 dst_sel:DWORD dst_unused:UNUSED_PAD src0_sel:BYTE_0 src1_sel:DWORD
	v_lshrrev_b16_e32 v16, 12, v6
	v_mul_lo_u16_e32 v6, 17, v16
	v_sub_u16_e32 v17, v1, v6
	v_lshlrev_b32_sdwa v6, v5, v17 dst_sel:DWORD dst_unused:UNUSED_PAD src0_sel:DWORD src1_sel:BYTE_0
	global_load_dwordx4 v[38:41], v6, s[2:3] offset:16
	global_load_dwordx4 v[44:47], v6, s[2:3]
	v_mul_lo_u16_sdwa v6, v2, s8 dst_sel:DWORD dst_unused:UNUSED_PAD src0_sel:BYTE_0 src1_sel:DWORD
	v_lshrrev_b16_e32 v18, 12, v6
	v_mul_lo_u16_e32 v6, 17, v18
	v_mul_lo_u16_sdwa v4, v201, s8 dst_sel:DWORD dst_unused:UNUSED_PAD src0_sel:BYTE_0 src1_sel:DWORD
	v_sub_u16_e32 v19, v2, v6
	v_lshrrev_b16_e32 v12, 12, v4
	v_lshlrev_b32_sdwa v6, v5, v19 dst_sel:DWORD dst_unused:UNUSED_PAD src0_sel:DWORD src1_sel:BYTE_0
	v_mul_lo_u16_e32 v4, 17, v12
	global_load_dwordx4 v[204:207], v6, s[2:3] offset:16
	global_load_dwordx4 v[208:211], v6, s[2:3]
	v_mul_lo_u16_sdwa v6, v3, s8 dst_sel:DWORD dst_unused:UNUSED_PAD src0_sel:BYTE_0 src1_sel:DWORD
	v_sub_u16_e32 v13, v201, v4
	v_lshrrev_b16_e32 v20, 12, v6
	v_lshlrev_b16_e32 v4, 1, v13
	v_mul_lo_u16_e32 v6, 17, v20
	v_and_b32_e32 v4, 0xfe, v4
	v_sub_u16_e32 v21, v3, v6
	v_lshlrev_b32_sdwa v5, v5, v21 dst_sel:DWORD dst_unused:UNUSED_PAD src0_sel:DWORD src1_sel:BYTE_0
	v_lshlrev_b32_e32 v4, 4, v4
	global_load_dwordx4 v[212:215], v5, s[2:3]
	global_load_dwordx4 v[221:224], v4, s[2:3]
	global_load_dwordx4 v[28:31], v4, s[2:3] offset:16
	global_load_dwordx4 v[217:220], v5, s[2:3] offset:16
	v_add_lshl_u32 v190, v202, v201, 4
	ds_read_b128 v[4:7], v190
	ds_read_b128 v[8:11], v190 offset:816
	ds_read_b128 v[48:51], v190 offset:8160
	;; [unrolled: 1-line block ×14, first 2 shown]
	s_mov_b32 s8, 0xe8584caa
	s_mov_b32 s9, 0x3febb67a
	;; [unrolled: 1-line block ×4, first 2 shown]
	v_mad_legacy_u16 v12, v12, 51, v13
	v_and_b32_e32 v12, 0xff, v12
	v_add_lshl_u32 v229, v202, v12, 4
	s_movk_i32 s16, 0xa1
	s_mov_b32 s18, 0x4755a5e
	s_mov_b32 s19, 0x3fe2cf23
	;; [unrolled: 1-line block ×7, first 2 shown]
	v_lshlrev_b32_e32 v0, 5, v0
	v_lshl_add_u32 v255, v201, 4, v203
	s_waitcnt vmcnt(9) lgkmcnt(11)
	v_mul_f64 v[104:105], v[54:55], v[36:37]
	s_waitcnt vmcnt(8) lgkmcnt(10)
	v_mul_f64 v[100:101], v[58:59], v[26:27]
	v_mul_f64 v[102:103], v[56:57], v[26:27]
	;; [unrolled: 1-line block ×3, first 2 shown]
	s_waitcnt vmcnt(7) lgkmcnt(6)
	v_mul_f64 v[112:113], v[74:75], v[40:41]
	v_mul_f64 v[114:115], v[72:73], v[40:41]
	s_waitcnt vmcnt(6)
	v_mul_f64 v[108:109], v[62:63], v[46:47]
	v_fma_f64 v[56:57], v[56:57], v[24:25], -v[100:101]
	v_mul_f64 v[110:111], v[60:61], v[46:47]
	v_fma_f64 v[58:59], v[58:59], v[24:25], v[102:103]
	v_fma_f64 v[102:103], v[52:53], v[34:35], -v[104:105]
	v_fma_f64 v[104:105], v[54:55], v[34:35], v[106:107]
	v_fma_f64 v[72:73], v[72:73], v[38:39], -v[112:113]
	buffer_store_dword v38, off, s[64:67], 0 offset:60 ; 4-byte Folded Spill
	s_nop 0
	buffer_store_dword v39, off, s[64:67], 0 offset:64 ; 4-byte Folded Spill
	buffer_store_dword v40, off, s[64:67], 0 offset:68 ; 4-byte Folded Spill
	;; [unrolled: 1-line block ×3, first 2 shown]
	s_waitcnt vmcnt(9) lgkmcnt(5)
	v_mul_f64 v[120:121], v[78:79], v[206:207]
	v_mul_f64 v[122:123], v[76:77], v[206:207]
	v_fma_f64 v[106:107], v[60:61], v[44:45], -v[108:109]
	v_fma_f64 v[108:109], v[62:63], v[44:45], v[110:111]
	s_waitcnt vmcnt(8) lgkmcnt(2)
	v_mul_f64 v[116:117], v[90:91], v[210:211]
	v_mul_f64 v[118:119], v[88:89], v[210:211]
	s_waitcnt vmcnt(0) lgkmcnt(0)
	s_barrier
	v_fma_f64 v[110:111], v[76:77], v[204:205], -v[120:121]
	v_mul_f64 v[128:129], v[82:83], v[223:224]
	v_mul_f64 v[130:131], v[50:51], v[30:31]
	;; [unrolled: 1-line block ×4, first 2 shown]
	v_fma_f64 v[112:113], v[78:79], v[204:205], v[122:123]
	v_mul_f64 v[124:125], v[94:95], v[214:215]
	v_mul_f64 v[126:127], v[92:93], v[214:215]
	;; [unrolled: 1-line block ×3, first 2 shown]
	v_fma_f64 v[80:81], v[80:81], v[221:222], -v[128:129]
	v_fma_f64 v[100:101], v[48:49], v[28:29], -v[130:131]
	v_fma_f64 v[48:49], v[82:83], v[221:222], v[136:137]
	v_fma_f64 v[50:51], v[50:51], v[28:29], v[138:139]
	v_fma_f64 v[82:83], v[88:89], v[208:209], -v[116:117]
	v_add_f64 v[88:89], v[58:59], -v[104:105]
	v_mul_f64 v[134:135], v[96:97], v[219:220]
	v_fma_f64 v[90:91], v[90:91], v[208:209], v[118:119]
	v_add_f64 v[54:55], v[4:5], v[80:81]
	v_add_f64 v[52:53], v[80:81], v[100:101]
	;; [unrolled: 1-line block ×4, first 2 shown]
	v_add_f64 v[60:61], v[48:49], -v[50:51]
	v_add_f64 v[78:79], v[80:81], -v[100:101]
	v_fma_f64 v[92:93], v[92:93], v[212:213], -v[124:125]
	v_fma_f64 v[94:95], v[94:95], v[212:213], v[126:127]
	v_fma_f64 v[96:97], v[96:97], v[217:218], -v[132:133]
	v_fma_f64 v[52:53], v[52:53], -0.5, v[4:5]
	v_add_f64 v[4:5], v[54:55], v[100:101]
	v_add_f64 v[54:55], v[56:57], v[102:103]
	v_fma_f64 v[62:63], v[62:63], -0.5, v[6:7]
	v_add_f64 v[6:7], v[76:77], v[50:51]
	v_add_f64 v[76:77], v[58:59], v[104:105]
	;; [unrolled: 1-line block ×3, first 2 shown]
	v_fma_f64 v[98:99], v[98:99], v[217:218], v[134:135]
	v_fma_f64 v[48:49], v[60:61], s[8:9], v[52:53]
	;; [unrolled: 1-line block ×3, first 2 shown]
	v_add_f64 v[60:61], v[8:9], v[56:57]
	v_fma_f64 v[80:81], v[54:55], -0.5, v[8:9]
	v_fma_f64 v[50:51], v[78:79], s[10:11], v[62:63]
	v_fma_f64 v[54:55], v[78:79], s[8:9], v[62:63]
	v_add_f64 v[62:63], v[106:107], v[72:73]
	v_fma_f64 v[76:77], v[76:77], -0.5, v[10:11]
	v_add_f64 v[78:79], v[56:57], -v[102:103]
	v_add_f64 v[10:11], v[58:59], v[104:105]
	v_add_f64 v[8:9], v[60:61], v[102:103]
	v_fma_f64 v[56:57], v[88:89], s[8:9], v[80:81]
	v_fma_f64 v[60:61], v[88:89], s[10:11], v[80:81]
	v_add_f64 v[88:89], v[64:65], v[106:107]
	v_add_f64 v[104:105], v[82:83], v[110:111]
	v_fma_f64 v[100:101], v[62:63], -0.5, v[64:65]
	v_fma_f64 v[58:59], v[78:79], s[10:11], v[76:77]
	v_fma_f64 v[62:63], v[78:79], s[8:9], v[76:77]
	v_add_f64 v[78:79], v[66:67], v[108:109]
	v_add_f64 v[106:107], v[106:107], -v[72:73]
	v_add_f64 v[64:65], v[88:89], v[72:73]
	v_add_f64 v[88:89], v[68:69], v[82:83]
	v_fma_f64 v[104:105], v[104:105], -0.5, v[68:69]
	ds_write_b128 v229, v[4:7]
	ds_write_b128 v229, v[48:51] offset:272
	ds_write_b128 v229, v[52:55] offset:544
	v_mul_u32_u24_e32 v4, 51, v14
	v_add_u32_sdwa v4, v4, v15 dst_sel:DWORD dst_unused:UNUSED_PAD src0_sel:DWORD src1_sel:BYTE_0
	v_add_lshl_u32 v4, v202, v4, 4
	ds_write_b128 v4, v[8:11]
	ds_write_b128 v4, v[56:59] offset:272
	buffer_store_dword v4, off, s[64:67], 0 offset:40 ; 4-byte Folded Spill
	v_add_f64 v[68:69], v[88:89], v[110:111]
	ds_write_b128 v4, v[60:63] offset:544
	v_mul_u32_u24_e32 v4, 51, v16
	v_add_u32_sdwa v4, v4, v17 dst_sel:DWORD dst_unused:UNUSED_PAD src0_sel:DWORD src1_sel:BYTE_0
	v_fma_f64 v[74:75], v[74:75], v[38:39], v[114:115]
	v_add_f64 v[114:115], v[92:93], -v[96:97]
	v_add_lshl_u32 v4, v202, v4, 4
	v_mul_lo_u16_sdwa v5, v1, s16 dst_sel:DWORD dst_unused:UNUSED_PAD src0_sel:BYTE_0 src1_sel:DWORD
	v_lshrrev_b16_e32 v5, 13, v5
	v_mul_lo_u16_e32 v5, 51, v5
	v_sub_u16_e32 v5, v1, v5
	v_and_b32_e32 v6, 0xff, v5
	v_add_f64 v[80:81], v[108:109], v[74:75]
	v_add_f64 v[102:103], v[108:109], -v[74:75]
	v_add_f64 v[108:109], v[90:91], -v[112:113]
	v_lshlrev_b32_e32 v5, 6, v6
	s_mov_b32 s16, 0x134454ff
	s_mov_b32 s17, 0x3fee6f0e
	s_mov_b32 s20, s16
	v_add_lshl_u32 v191, v202, v6, 4
	v_fma_f64 v[80:81], v[80:81], -0.5, v[66:67]
	v_fma_f64 v[72:73], v[102:103], s[8:9], v[100:101]
	v_fma_f64 v[76:77], v[102:103], s[10:11], v[100:101]
	v_add_f64 v[100:101], v[90:91], v[112:113]
	v_add_f64 v[66:67], v[78:79], v[74:75]
	;; [unrolled: 1-line block ×3, first 2 shown]
	v_fma_f64 v[88:89], v[108:109], s[10:11], v[104:105]
	v_add_f64 v[90:91], v[70:71], v[90:91]
	v_fma_f64 v[74:75], v[106:107], s[10:11], v[80:81]
	v_fma_f64 v[78:79], v[106:107], s[8:9], v[80:81]
	;; [unrolled: 1-line block ×3, first 2 shown]
	v_add_f64 v[104:105], v[94:95], v[98:99]
	v_fma_f64 v[100:101], v[100:101], -0.5, v[70:71]
	v_add_f64 v[106:107], v[82:83], -v[110:111]
	v_add_f64 v[108:109], v[84:85], v[92:93]
	v_add_f64 v[110:111], v[94:95], -v[98:99]
	v_add_f64 v[94:95], v[86:87], v[94:95]
	v_fma_f64 v[102:103], v[102:103], -0.5, v[84:85]
	v_add_f64 v[70:71], v[90:91], v[112:113]
	v_fma_f64 v[104:105], v[104:105], -0.5, v[86:87]
	ds_write_b128 v4, v[64:67]
	ds_write_b128 v4, v[72:75] offset:272
	v_fma_f64 v[90:91], v[106:107], s[8:9], v[100:101]
	v_fma_f64 v[82:83], v[106:107], s[10:11], v[100:101]
	v_add_f64 v[84:85], v[108:109], v[96:97]
	v_add_f64 v[86:87], v[94:95], v[98:99]
	v_fma_f64 v[92:93], v[110:111], s[8:9], v[102:103]
	v_fma_f64 v[96:97], v[110:111], s[10:11], v[102:103]
	;; [unrolled: 1-line block ×4, first 2 shown]
	buffer_store_dword v4, off, s[64:67], 0 offset:44 ; 4-byte Folded Spill
	ds_write_b128 v4, v[76:79] offset:544
	v_mul_u32_u24_e32 v4, 51, v18
	v_add_u32_sdwa v4, v4, v19 dst_sel:DWORD dst_unused:UNUSED_PAD src0_sel:DWORD src1_sel:BYTE_0
	v_add_lshl_u32 v4, v202, v4, 4
	ds_write_b128 v4, v[68:71]
	ds_write_b128 v4, v[80:83] offset:272
	buffer_store_dword v4, off, s[64:67], 0 offset:52 ; 4-byte Folded Spill
	ds_write_b128 v4, v[88:91] offset:544
	v_mul_u32_u24_e32 v4, 51, v20
	v_add_u32_sdwa v4, v4, v21 dst_sel:DWORD dst_unused:UNUSED_PAD src0_sel:DWORD src1_sel:BYTE_0
	v_add_lshl_u32 v216, v202, v4, 4
	v_lshlrev_b32_e32 v4, 6, v201
	ds_write_b128 v216, v[84:87]
	ds_write_b128 v216, v[92:95] offset:272
	ds_write_b128 v216, v[96:99] offset:544
	s_waitcnt vmcnt(0) lgkmcnt(0)
	s_barrier
	global_load_dwordx4 v[64:67], v4, s[2:3] offset:544
	global_load_dwordx4 v[60:63], v4, s[2:3] offset:560
	;; [unrolled: 1-line block ×8, first 2 shown]
	ds_read_b128 v[7:10], v190
	ds_read_b128 v[80:83], v190 offset:816
	ds_read_b128 v[84:87], v190 offset:4896
	;; [unrolled: 1-line block ×14, first 2 shown]
	v_mov_b32_e32 v5, s3
	v_add_co_u32_e32 v4, vcc, s2, v4
	v_addc_co_u32_e32 v5, vcc, 0, v5, vcc
	v_lshlrev_b32_e32 v6, 5, v201
	v_sub_co_u32_e32 v4, vcc, v4, v6
	v_subbrev_co_u32_e32 v5, vcc, 0, v5, vcc
	s_waitcnt vmcnt(0) lgkmcnt(0)
	s_barrier
	v_mul_f64 v[136:137], v[102:103], v[66:67]
	v_mul_f64 v[138:139], v[100:101], v[66:67]
	;; [unrolled: 1-line block ×7, first 2 shown]
	v_fma_f64 v[100:101], v[100:101], v[64:65], -v[136:137]
	v_mul_f64 v[136:137], v[94:95], v[50:51]
	v_fma_f64 v[102:103], v[102:103], v[64:65], v[138:139]
	v_fma_f64 v[138:139], v[84:85], v[60:61], -v[140:141]
	v_mul_f64 v[84:85], v[110:111], v[66:67]
	v_fma_f64 v[140:141], v[86:87], v[60:61], v[142:143]
	v_fma_f64 v[86:87], v[116:117], v[56:57], -v[144:145]
	v_fma_f64 v[116:117], v[118:119], v[56:57], v[146:147]
	v_mul_f64 v[118:119], v[108:109], v[66:67]
	v_fma_f64 v[92:93], v[92:93], v[48:49], -v[136:137]
	v_mul_f64 v[136:137], v[90:91], v[62:63]
	v_mul_f64 v[142:143], v[88:89], v[62:63]
	;; [unrolled: 1-line block ×3, first 2 shown]
	v_fma_f64 v[108:109], v[108:109], v[64:65], -v[84:85]
	v_mul_f64 v[84:85], v[98:99], v[50:51]
	v_fma_f64 v[94:95], v[94:95], v[48:49], v[148:149]
	v_mul_f64 v[144:145], v[126:127], v[58:59]
	v_mul_f64 v[148:149], v[96:97], v[50:51]
	v_fma_f64 v[110:111], v[110:111], v[64:65], v[118:119]
	v_fma_f64 v[118:119], v[88:89], v[60:61], -v[136:137]
	v_fma_f64 v[136:137], v[90:91], v[60:61], v[142:143]
	v_fma_f64 v[126:127], v[126:127], v[56:57], v[146:147]
	v_mul_f64 v[88:89], v[114:115], v[70:71]
	v_fma_f64 v[142:143], v[96:97], v[48:49], -v[84:85]
	v_mul_f64 v[84:85], v[112:113], v[70:71]
	v_mul_f64 v[90:91], v[122:123], v[74:75]
	v_add_f64 v[96:97], v[7:8], v[100:101]
	v_add_f64 v[146:147], v[138:139], v[86:87]
	v_fma_f64 v[124:125], v[124:125], v[56:57], -v[144:145]
	v_fma_f64 v[144:145], v[98:99], v[48:49], v[148:149]
	v_fma_f64 v[148:149], v[112:113], v[68:69], -v[88:89]
	v_mul_f64 v[88:89], v[130:131], v[54:55]
	v_mul_f64 v[112:113], v[128:129], v[54:55]
	v_fma_f64 v[150:151], v[114:115], v[68:69], v[84:85]
	v_fma_f64 v[152:153], v[120:121], v[72:73], -v[90:91]
	v_add_f64 v[84:85], v[96:97], v[138:139]
	v_fma_f64 v[90:91], v[146:147], -0.5, v[7:8]
	v_add_f64 v[96:97], v[102:103], -v[94:95]
	v_mul_f64 v[98:99], v[120:121], v[74:75]
	v_fma_f64 v[128:129], v[128:129], v[52:53], -v[88:89]
	v_fma_f64 v[130:131], v[130:131], v[52:53], v[112:113]
	v_mul_f64 v[88:89], v[134:135], v[227:228]
	v_add_f64 v[114:115], v[140:141], -v[116:117]
	v_add_f64 v[120:121], v[100:101], v[92:93]
	v_add_f64 v[146:147], v[100:101], -v[138:139]
	v_fma_f64 v[112:113], v[96:97], s[16:17], v[90:91]
	v_fma_f64 v[122:123], v[122:123], v[72:73], v[98:99]
	v_mul_f64 v[98:99], v[132:133], v[227:228]
	v_add_f64 v[154:155], v[92:93], -v[86:87]
	v_fma_f64 v[132:133], v[132:133], v[225:226], -v[88:89]
	v_add_f64 v[84:85], v[84:85], v[86:87]
	v_fma_f64 v[7:8], v[120:121], -0.5, v[7:8]
	v_add_f64 v[120:121], v[140:141], v[116:117]
	v_fma_f64 v[88:89], v[114:115], s[18:19], v[112:113]
	v_add_f64 v[112:113], v[9:10], v[102:103]
	v_fma_f64 v[134:135], v[134:135], v[225:226], v[98:99]
	;; [unrolled: 2-line block ×3, first 2 shown]
	v_add_f64 v[154:155], v[138:139], -v[100:101]
	v_fma_f64 v[146:147], v[114:115], s[20:21], v[7:8]
	v_add_f64 v[156:157], v[86:87], -v[92:93]
	v_fma_f64 v[7:8], v[114:115], s[16:17], v[7:8]
	v_add_f64 v[112:113], v[112:113], v[140:141]
	v_add_f64 v[84:85], v[84:85], v[92:93]
	v_fma_f64 v[120:121], v[120:121], -0.5, v[9:10]
	v_add_f64 v[100:101], v[100:101], -v[92:93]
	v_fma_f64 v[90:91], v[114:115], s[22:23], v[90:91]
	v_fma_f64 v[92:93], v[96:97], s[18:19], v[146:147]
	v_add_f64 v[114:115], v[154:155], v[156:157]
	v_fma_f64 v[96:97], v[96:97], s[22:23], v[7:8]
	v_add_f64 v[112:113], v[112:113], v[116:117]
	v_add_f64 v[154:155], v[102:103], v[94:95]
	v_add_f64 v[138:139], v[138:139], -v[86:87]
	v_fma_f64 v[146:147], v[100:101], s[20:21], v[120:121]
	v_fma_f64 v[7:8], v[98:99], s[24:25], v[88:89]
	;; [unrolled: 1-line block ×5, first 2 shown]
	v_add_f64 v[86:87], v[112:113], v[94:95]
	v_fma_f64 v[9:10], v[154:155], -0.5, v[9:10]
	v_add_f64 v[98:99], v[102:103], -v[140:141]
	v_add_f64 v[112:113], v[94:95], -v[116:117]
	v_add_f64 v[114:115], v[80:81], v[108:109]
	v_fma_f64 v[90:91], v[138:139], s[22:23], v[146:147]
	v_fma_f64 v[120:121], v[100:101], s[16:17], v[120:121]
	v_add_f64 v[146:147], v[118:119], v[124:125]
	v_add_f64 v[102:103], v[140:141], -v[102:103]
	v_fma_f64 v[154:155], v[138:139], s[16:17], v[9:10]
	v_add_f64 v[94:95], v[116:117], -v[94:95]
	v_fma_f64 v[9:10], v[138:139], s[20:21], v[9:10]
	v_add_f64 v[98:99], v[98:99], v[112:113]
	v_add_f64 v[112:113], v[114:115], v[118:119]
	v_fma_f64 v[114:115], v[138:139], s[18:19], v[120:121]
	v_fma_f64 v[116:117], v[146:147], -0.5, v[80:81]
	v_add_f64 v[120:121], v[110:111], -v[144:145]
	v_fma_f64 v[138:139], v[100:101], s[22:23], v[154:155]
	v_add_f64 v[102:103], v[102:103], v[94:95]
	v_fma_f64 v[100:101], v[100:101], s[18:19], v[9:10]
	v_add_f64 v[140:141], v[108:109], v[142:143]
	v_add_f64 v[112:113], v[112:113], v[124:125]
	v_fma_f64 v[9:10], v[98:99], s[24:25], v[90:91]
	v_fma_f64 v[90:91], v[98:99], s[24:25], v[114:115]
	;; [unrolled: 1-line block ×3, first 2 shown]
	v_add_f64 v[146:147], v[136:137], -v[126:127]
	v_fma_f64 v[94:95], v[102:103], s[24:25], v[138:139]
	v_fma_f64 v[98:99], v[102:103], s[24:25], v[100:101]
	v_fma_f64 v[100:101], v[140:141], -0.5, v[80:81]
	v_add_f64 v[80:81], v[112:113], v[142:143]
	v_add_f64 v[102:103], v[108:109], -v[118:119]
	v_add_f64 v[112:113], v[142:143], -v[124:125]
	v_fma_f64 v[116:117], v[120:121], s[20:21], v[116:117]
	v_fma_f64 v[114:115], v[146:147], s[18:19], v[114:115]
	v_add_f64 v[156:157], v[118:119], -v[108:109]
	v_add_f64 v[158:159], v[124:125], -v[142:143]
	v_fma_f64 v[154:155], v[146:147], s[20:21], v[100:101]
	v_add_f64 v[138:139], v[82:83], v[110:111]
	v_add_f64 v[140:141], v[136:137], v[126:127]
	;; [unrolled: 1-line block ×3, first 2 shown]
	v_fma_f64 v[112:113], v[146:147], s[22:23], v[116:117]
	v_fma_f64 v[116:117], v[146:147], s[16:17], v[100:101]
	v_add_f64 v[142:143], v[108:109], -v[142:143]
	v_add_f64 v[118:119], v[118:119], -v[124:125]
	v_fma_f64 v[146:147], v[120:121], s[18:19], v[154:155]
	v_add_f64 v[154:155], v[156:157], v[158:159]
	v_add_f64 v[138:139], v[138:139], v[136:137]
	v_fma_f64 v[100:101], v[102:103], s[24:25], v[114:115]
	v_fma_f64 v[108:109], v[102:103], s[24:25], v[112:113]
	;; [unrolled: 1-line block ×3, first 2 shown]
	v_add_f64 v[120:121], v[110:111], v[144:145]
	v_fma_f64 v[140:141], v[140:141], -0.5, v[82:83]
	v_add_f64 v[124:125], v[152:153], v[128:129]
	v_fma_f64 v[112:113], v[154:155], s[24:25], v[146:147]
	v_add_f64 v[114:115], v[138:139], v[126:127]
	v_add_f64 v[146:147], v[110:111], -v[136:137]
	v_add_f64 v[156:157], v[144:145], -v[126:127]
	v_fma_f64 v[116:117], v[154:155], s[24:25], v[102:103]
	v_fma_f64 v[102:103], v[120:121], -0.5, v[82:83]
	v_fma_f64 v[138:139], v[142:143], s[20:21], v[140:141]
	v_add_f64 v[120:121], v[104:105], v[148:149]
	v_fma_f64 v[140:141], v[142:143], s[16:17], v[140:141]
	v_add_f64 v[110:111], v[136:137], -v[110:111]
	v_add_f64 v[126:127], v[126:127], -v[144:145]
	v_add_f64 v[82:83], v[114:115], v[144:145]
	v_fma_f64 v[124:125], v[124:125], -0.5, v[104:105]
	v_fma_f64 v[154:155], v[118:119], s[16:17], v[102:103]
	v_fma_f64 v[102:103], v[118:119], s[20:21], v[102:103]
	;; [unrolled: 1-line block ×3, first 2 shown]
	v_add_f64 v[138:139], v[150:151], -v[134:135]
	v_add_f64 v[146:147], v[146:147], v[156:157]
	v_add_f64 v[120:121], v[120:121], v[152:153]
	v_fma_f64 v[118:119], v[118:119], s[18:19], v[140:141]
	v_add_f64 v[126:127], v[110:111], v[126:127]
	v_fma_f64 v[154:155], v[142:143], s[22:23], v[154:155]
	v_fma_f64 v[142:143], v[142:143], s[18:19], v[102:103]
	v_add_f64 v[144:145], v[122:123], -v[130:131]
	v_fma_f64 v[136:137], v[138:139], s[16:17], v[124:125]
	v_add_f64 v[156:157], v[148:149], -v[152:153]
	v_add_f64 v[158:159], v[132:133], -v[128:129]
	v_add_f64 v[140:141], v[148:149], v[132:133]
	v_add_f64 v[120:121], v[120:121], v[128:129]
	v_fma_f64 v[102:103], v[146:147], s[24:25], v[114:115]
	v_fma_f64 v[110:111], v[146:147], s[24:25], v[118:119]
	;; [unrolled: 1-line block ×4, first 2 shown]
	v_add_f64 v[126:127], v[122:123], v[130:131]
	v_add_f64 v[146:147], v[150:151], v[134:135]
	v_fma_f64 v[136:137], v[144:145], s[18:19], v[136:137]
	v_add_f64 v[156:157], v[156:157], v[158:159]
	v_fma_f64 v[140:141], v[140:141], -0.5, v[104:105]
	v_fma_f64 v[124:125], v[138:139], s[20:21], v[124:125]
	v_add_f64 v[158:159], v[106:107], v[150:151]
	v_add_f64 v[104:105], v[120:121], v[132:133]
	v_add_f64 v[154:155], v[128:129], -v[132:133]
	v_fma_f64 v[126:127], v[126:127], -0.5, v[106:107]
	v_add_f64 v[132:133], v[148:149], -v[132:133]
	v_add_f64 v[142:143], v[152:153], -v[148:149]
	;; [unrolled: 1-line block ×3, first 2 shown]
	v_fma_f64 v[106:107], v[146:147], -0.5, v[106:107]
	v_fma_f64 v[120:121], v[156:157], s[24:25], v[136:137]
	v_fma_f64 v[136:137], v[144:145], s[20:21], v[140:141]
	;; [unrolled: 1-line block ×4, first 2 shown]
	v_add_f64 v[144:145], v[158:159], v[122:123]
	v_fma_f64 v[146:147], v[132:133], s[20:21], v[126:127]
	v_add_f64 v[148:149], v[150:151], -v[122:123]
	v_add_f64 v[152:153], v[134:135], -v[130:131]
	v_add_f64 v[142:143], v[142:143], v[154:155]
	v_fma_f64 v[154:155], v[128:129], s[16:17], v[106:107]
	v_add_f64 v[122:123], v[122:123], -v[150:151]
	v_add_f64 v[150:151], v[130:131], -v[134:135]
	v_fma_f64 v[106:107], v[128:129], s[20:21], v[106:107]
	v_fma_f64 v[126:127], v[132:133], s[16:17], v[126:127]
	v_add_f64 v[130:131], v[144:145], v[130:131]
	v_fma_f64 v[136:137], v[138:139], s[18:19], v[136:137]
	v_fma_f64 v[138:139], v[138:139], s[22:23], v[140:141]
	;; [unrolled: 1-line block ×3, first 2 shown]
	v_add_f64 v[144:145], v[148:149], v[152:153]
	v_fma_f64 v[146:147], v[132:133], s[22:23], v[154:155]
	v_add_f64 v[148:149], v[122:123], v[150:151]
	v_fma_f64 v[150:151], v[132:133], s[18:19], v[106:107]
	v_fma_f64 v[126:127], v[128:129], s[18:19], v[126:127]
	v_add_f64 v[106:107], v[130:131], v[134:135]
	v_fma_f64 v[128:129], v[142:143], s[24:25], v[136:137]
	v_fma_f64 v[132:133], v[142:143], s[24:25], v[138:139]
	;; [unrolled: 1-line block ×7, first 2 shown]
	ds_write_b128 v190, v[84:87]
	ds_write_b128 v190, v[7:10] offset:816
	ds_write_b128 v190, v[92:95] offset:1632
	;; [unrolled: 1-line block ×14, first 2 shown]
	s_waitcnt lgkmcnt(0)
	s_barrier
	global_load_dwordx4 v[84:87], v[4:5], off offset:3808
	global_load_dwordx4 v[80:83], v[4:5], off offset:3824
	global_load_dwordx4 v[92:95], v0, s[2:3] offset:3808
	global_load_dwordx4 v[88:91], v0, s[2:3] offset:3824
	v_lshlrev_b32_e32 v0, 5, v1
	global_load_dwordx4 v[100:103], v0, s[2:3] offset:3808
	global_load_dwordx4 v[96:99], v0, s[2:3] offset:3824
	v_lshlrev_b32_e32 v0, 5, v2
	;; [unrolled: 3-line block ×3, first 2 shown]
	global_load_dwordx4 v[116:119], v0, s[2:3] offset:3808
	global_load_dwordx4 v[108:111], v0, s[2:3] offset:3824
	ds_read_b128 v[0:3], v190 offset:4080
	ds_read_b128 v[4:7], v190
	ds_read_b128 v[8:11], v190 offset:816
	ds_read_b128 v[120:123], v190 offset:8160
	;; [unrolled: 1-line block ×13, first 2 shown]
	s_waitcnt vmcnt(9) lgkmcnt(14)
	v_mul_f64 v[140:141], v[2:3], v[86:87]
	v_mul_f64 v[154:155], v[0:1], v[86:87]
	s_waitcnt vmcnt(8) lgkmcnt(11)
	v_mul_f64 v[164:165], v[122:123], v[82:83]
	v_mul_f64 v[174:175], v[120:121], v[82:83]
	s_waitcnt vmcnt(7) lgkmcnt(9)
	v_mul_f64 v[176:177], v[130:131], v[94:95]
	v_fma_f64 v[0:1], v[0:1], v[84:85], -v[140:141]
	v_mul_f64 v[140:141], v[128:129], v[94:95]
	v_fma_f64 v[2:3], v[2:3], v[84:85], v[154:155]
	s_waitcnt vmcnt(6)
	v_mul_f64 v[154:155], v[126:127], v[90:91]
	v_fma_f64 v[164:165], v[120:121], v[80:81], -v[164:165]
	v_mul_f64 v[120:121], v[124:125], v[90:91]
	v_fma_f64 v[122:123], v[122:123], v[80:81], v[174:175]
	v_fma_f64 v[174:175], v[128:129], v[92:93], -v[176:177]
	s_waitcnt vmcnt(5) lgkmcnt(8)
	v_mul_f64 v[128:129], v[134:135], v[102:103]
	v_fma_f64 v[130:131], v[130:131], v[92:93], v[140:141]
	v_mul_f64 v[140:141], v[132:133], v[102:103]
	v_fma_f64 v[154:155], v[124:125], v[88:89], -v[154:155]
	s_waitcnt vmcnt(4) lgkmcnt(5)
	v_mul_f64 v[124:125], v[138:139], v[98:99]
	v_fma_f64 v[176:177], v[126:127], v[88:89], v[120:121]
	v_mul_f64 v[120:121], v[136:137], v[98:99]
	s_waitcnt vmcnt(3) lgkmcnt(2)
	v_mul_f64 v[126:127], v[152:153], v[114:115]
	v_fma_f64 v[178:179], v[132:133], v[100:101], -v[128:129]
	v_mul_f64 v[128:129], v[150:151], v[114:115]
	s_waitcnt vmcnt(2)
	v_mul_f64 v[132:133], v[148:149], v[106:107]
	v_fma_f64 v[180:181], v[134:135], v[100:101], v[140:141]
	v_fma_f64 v[182:183], v[136:137], v[96:97], -v[124:125]
	v_mul_f64 v[124:125], v[146:147], v[106:107]
	v_fma_f64 v[184:185], v[138:139], v[96:97], v[120:121]
	v_fma_f64 v[186:187], v[150:151], v[112:113], -v[126:127]
	s_waitcnt vmcnt(1) lgkmcnt(1)
	v_mul_f64 v[120:121], v[162:163], v[118:119]
	v_fma_f64 v[188:189], v[152:153], v[112:113], v[128:129]
	v_mul_f64 v[126:127], v[160:161], v[118:119]
	v_add_f64 v[128:129], v[0:1], v[164:165]
	v_fma_f64 v[192:193], v[146:147], v[104:105], -v[132:133]
	v_fma_f64 v[194:195], v[148:149], v[104:105], v[124:125]
	s_waitcnt vmcnt(0) lgkmcnt(0)
	v_mul_f64 v[124:125], v[172:173], v[110:111]
	v_mul_f64 v[132:133], v[170:171], v[110:111]
	v_fma_f64 v[196:197], v[160:161], v[116:117], -v[120:121]
	v_add_f64 v[120:121], v[4:5], v[0:1]
	v_fma_f64 v[162:163], v[162:163], v[116:117], v[126:127]
	v_add_f64 v[126:127], v[2:3], v[122:123]
	v_fma_f64 v[4:5], v[128:129], -0.5, v[4:5]
	v_add_f64 v[128:129], v[2:3], -v[122:123]
	v_add_f64 v[2:3], v[6:7], v[2:3]
	v_fma_f64 v[170:171], v[170:171], v[108:109], -v[124:125]
	v_fma_f64 v[198:199], v[172:173], v[108:109], v[132:133]
	v_add_f64 v[132:133], v[174:175], v[154:155]
	v_add_f64 v[0:1], v[0:1], -v[164:165]
	v_fma_f64 v[6:7], v[126:127], -0.5, v[6:7]
	v_add_f64 v[134:135], v[130:131], -v[176:177]
	v_fma_f64 v[124:125], v[128:129], s[8:9], v[4:5]
	v_fma_f64 v[128:129], v[128:129], s[10:11], v[4:5]
	v_add_f64 v[4:5], v[8:9], v[174:175]
	v_add_f64 v[122:123], v[2:3], v[122:123]
	;; [unrolled: 1-line block ×3, first 2 shown]
	v_fma_f64 v[8:9], v[132:133], -0.5, v[8:9]
	v_fma_f64 v[126:127], v[0:1], s[10:11], v[6:7]
	v_add_f64 v[138:139], v[10:11], v[130:131]
	v_fma_f64 v[130:131], v[0:1], s[8:9], v[6:7]
	v_add_f64 v[0:1], v[178:179], v[182:183]
	v_add_f64 v[132:133], v[4:5], v[154:155]
	v_add_f64 v[4:5], v[174:175], -v[154:155]
	v_fma_f64 v[2:3], v[2:3], -0.5, v[10:11]
	v_add_f64 v[6:7], v[180:181], v[184:185]
	v_fma_f64 v[136:137], v[134:135], s[8:9], v[8:9]
	v_fma_f64 v[140:141], v[134:135], s[10:11], v[8:9]
	v_add_f64 v[134:135], v[138:139], v[176:177]
	v_add_f64 v[8:9], v[142:143], v[178:179]
	v_fma_f64 v[0:1], v[0:1], -0.5, v[142:143]
	v_add_f64 v[10:11], v[180:181], -v[184:185]
	v_fma_f64 v[138:139], v[4:5], s[10:11], v[2:3]
	v_add_f64 v[146:147], v[186:187], v[192:193]
	v_fma_f64 v[142:143], v[4:5], s[8:9], v[2:3]
	v_add_f64 v[2:3], v[144:145], v[180:181]
	v_fma_f64 v[4:5], v[6:7], -0.5, v[144:145]
	v_add_f64 v[6:7], v[178:179], -v[182:183]
	v_add_f64 v[120:121], v[120:121], v[164:165]
	v_add_f64 v[144:145], v[8:9], v[182:183]
	v_fma_f64 v[148:149], v[10:11], s[8:9], v[0:1]
	v_add_f64 v[8:9], v[156:157], v[186:187]
	v_fma_f64 v[164:165], v[146:147], -0.5, v[156:157]
	v_fma_f64 v[152:153], v[10:11], s[10:11], v[0:1]
	v_add_f64 v[146:147], v[2:3], v[184:185]
	v_fma_f64 v[150:151], v[6:7], s[10:11], v[4:5]
	v_add_f64 v[0:1], v[188:189], v[194:195]
	;; [unrolled: 2-line block ×3, first 2 shown]
	v_add_f64 v[4:5], v[162:163], v[198:199]
	v_add_f64 v[172:173], v[188:189], -v[194:195]
	v_add_f64 v[156:157], v[8:9], v[192:193]
	v_add_f64 v[6:7], v[158:159], v[188:189]
	v_add_f64 v[8:9], v[186:187], -v[192:193]
	v_fma_f64 v[0:1], v[0:1], -0.5, v[158:159]
	v_add_f64 v[10:11], v[166:167], v[196:197]
	v_fma_f64 v[2:3], v[2:3], -0.5, v[166:167]
	v_add_f64 v[174:175], v[162:163], -v[198:199]
	v_add_f64 v[178:179], v[168:169], v[162:163]
	v_fma_f64 v[4:5], v[4:5], -0.5, v[168:169]
	v_add_f64 v[180:181], v[196:197], -v[170:171]
	v_fma_f64 v[160:161], v[172:173], s[8:9], v[164:165]
	v_fma_f64 v[164:165], v[172:173], s[10:11], v[164:165]
	v_add_f64 v[158:159], v[6:7], v[194:195]
	v_fma_f64 v[162:163], v[8:9], s[10:11], v[0:1]
	v_fma_f64 v[166:167], v[8:9], s[8:9], v[0:1]
	v_add_f64 v[168:169], v[10:11], v[170:171]
	v_fma_f64 v[172:173], v[174:175], s[8:9], v[2:3]
	v_fma_f64 v[176:177], v[174:175], s[10:11], v[2:3]
	v_add_f64 v[170:171], v[178:179], v[198:199]
	v_fma_f64 v[174:175], v[180:181], s[10:11], v[4:5]
	v_fma_f64 v[178:179], v[180:181], s[8:9], v[4:5]
	v_lshlrev_b32_e32 v186, 4, v201
	v_add_u32_e32 v0, v186, v203
	ds_write_b128 v255, v[120:123]
	ds_write_b128 v255, v[124:127] offset:4080
	ds_write_b128 v255, v[128:131] offset:8160
	;; [unrolled: 1-line block ×14, first 2 shown]
	s_waitcnt lgkmcnt(0)
	s_barrier
	s_and_saveexec_b64 s[2:3], s[0:1]
	s_cbranch_execz .LBB0_9
; %bb.8:
	v_add_co_u32_e32 v1, vcc, s12, v200
	v_mov_b32_e32 v2, s13
	v_addc_co_u32_e32 v2, vcc, 0, v2, vcc
	v_add_co_u32_e32 v184, vcc, 0x2fd0, v1
	v_addc_co_u32_e32 v185, vcc, 0, v2, vcc
	v_add_co_u32_e32 v7, vcc, 0x2000, v1
	v_addc_co_u32_e32 v8, vcc, 0, v2, vcc
	global_load_dwordx4 v[7:10], v[7:8], off offset:4048
	ds_read_b128 v[3:6], v255
	s_movk_i32 s8, 0x4000
	s_waitcnt vmcnt(0) lgkmcnt(0)
	v_mul_f64 v[180:181], v[5:6], v[9:10]
	v_fma_f64 v[180:181], v[3:4], v[7:8], -v[180:181]
	v_mul_f64 v[3:4], v[3:4], v[9:10]
	v_fma_f64 v[182:183], v[5:6], v[7:8], v[3:4]
	global_load_dwordx4 v[7:10], v[184:185], off offset:720
	ds_read_b128 v[3:6], v255 offset:720
	ds_write_b128 v255, v[180:183]
	s_waitcnt vmcnt(0) lgkmcnt(1)
	v_mul_f64 v[180:181], v[5:6], v[9:10]
	v_fma_f64 v[180:181], v[3:4], v[7:8], -v[180:181]
	v_mul_f64 v[3:4], v[3:4], v[9:10]
	v_fma_f64 v[182:183], v[5:6], v[7:8], v[3:4]
	global_load_dwordx4 v[7:10], v[184:185], off offset:1440
	ds_read_b128 v[3:6], v255 offset:1440
	ds_write_b128 v255, v[180:183] offset:720
	s_waitcnt vmcnt(0) lgkmcnt(1)
	v_mul_f64 v[180:181], v[5:6], v[9:10]
	v_fma_f64 v[180:181], v[3:4], v[7:8], -v[180:181]
	v_mul_f64 v[3:4], v[3:4], v[9:10]
	v_fma_f64 v[182:183], v[5:6], v[7:8], v[3:4]
	global_load_dwordx4 v[7:10], v[184:185], off offset:2160
	ds_read_b128 v[3:6], v255 offset:2160
	ds_write_b128 v255, v[180:183] offset:1440
	;; [unrolled: 8-line block ×3, first 2 shown]
	s_waitcnt vmcnt(0) lgkmcnt(1)
	v_mul_f64 v[180:181], v[5:6], v[9:10]
	v_fma_f64 v[180:181], v[3:4], v[7:8], -v[180:181]
	v_mul_f64 v[3:4], v[3:4], v[9:10]
	v_fma_f64 v[182:183], v[5:6], v[7:8], v[3:4]
	global_load_dwordx4 v[7:10], v[184:185], off offset:3600
	ds_read_b128 v[3:6], v255 offset:3600
	v_add_co_u32_e32 v184, vcc, s8, v1
	v_addc_co_u32_e32 v185, vcc, 0, v2, vcc
	s_movk_i32 s8, 0x5000
	ds_write_b128 v255, v[180:183] offset:2880
	s_waitcnt vmcnt(0) lgkmcnt(1)
	v_mul_f64 v[180:181], v[5:6], v[9:10]
	v_fma_f64 v[180:181], v[3:4], v[7:8], -v[180:181]
	v_mul_f64 v[3:4], v[3:4], v[9:10]
	v_fma_f64 v[182:183], v[5:6], v[7:8], v[3:4]
	global_load_dwordx4 v[7:10], v[184:185], off offset:176
	ds_read_b128 v[3:6], v255 offset:4320
	ds_write_b128 v255, v[180:183] offset:3600
	s_waitcnt vmcnt(0) lgkmcnt(1)
	v_mul_f64 v[180:181], v[5:6], v[9:10]
	v_fma_f64 v[180:181], v[3:4], v[7:8], -v[180:181]
	v_mul_f64 v[3:4], v[3:4], v[9:10]
	v_fma_f64 v[182:183], v[5:6], v[7:8], v[3:4]
	global_load_dwordx4 v[7:10], v[184:185], off offset:896
	ds_read_b128 v[3:6], v255 offset:5040
	;; [unrolled: 8-line block ×6, first 2 shown]
	v_add_co_u32_e32 v184, vcc, s8, v1
	v_addc_co_u32_e32 v185, vcc, 0, v2, vcc
	ds_write_b128 v255, v[180:183] offset:7200
	s_waitcnt vmcnt(0) lgkmcnt(1)
	v_mul_f64 v[180:181], v[5:6], v[9:10]
	v_fma_f64 v[180:181], v[3:4], v[7:8], -v[180:181]
	v_mul_f64 v[3:4], v[3:4], v[9:10]
	v_fma_f64 v[182:183], v[5:6], v[7:8], v[3:4]
	global_load_dwordx4 v[7:10], v[184:185], off offset:400
	ds_read_b128 v[3:6], v255 offset:8640
	ds_write_b128 v255, v[180:183] offset:7920
	s_waitcnt vmcnt(0) lgkmcnt(1)
	v_mul_f64 v[1:2], v[5:6], v[9:10]
	v_fma_f64 v[1:2], v[3:4], v[7:8], -v[1:2]
	v_mul_f64 v[3:4], v[3:4], v[9:10]
	v_fma_f64 v[3:4], v[5:6], v[7:8], v[3:4]
	global_load_dwordx4 v[5:8], v[184:185], off offset:1120
	ds_write_b128 v255, v[1:4] offset:8640
	ds_read_b128 v[1:4], v255 offset:9360
	s_waitcnt vmcnt(0) lgkmcnt(0)
	v_mul_f64 v[9:10], v[3:4], v[7:8]
	v_fma_f64 v[180:181], v[1:2], v[5:6], -v[9:10]
	v_mul_f64 v[1:2], v[1:2], v[7:8]
	v_fma_f64 v[182:183], v[3:4], v[5:6], v[1:2]
	global_load_dwordx4 v[5:8], v[184:185], off offset:1840
	ds_read_b128 v[1:4], v255 offset:10080
	ds_write_b128 v255, v[180:183] offset:9360
	s_waitcnt vmcnt(0) lgkmcnt(1)
	v_mul_f64 v[9:10], v[3:4], v[7:8]
	v_fma_f64 v[180:181], v[1:2], v[5:6], -v[9:10]
	v_mul_f64 v[1:2], v[1:2], v[7:8]
	v_fma_f64 v[182:183], v[3:4], v[5:6], v[1:2]
	global_load_dwordx4 v[5:8], v[184:185], off offset:2560
	ds_read_b128 v[1:4], v255 offset:10800
	ds_write_b128 v255, v[180:183] offset:10080
	;; [unrolled: 8-line block ×3, first 2 shown]
	s_waitcnt vmcnt(0) lgkmcnt(1)
	v_mul_f64 v[9:10], v[3:4], v[7:8]
	v_fma_f64 v[180:181], v[1:2], v[5:6], -v[9:10]
	v_mul_f64 v[1:2], v[1:2], v[7:8]
	v_fma_f64 v[182:183], v[3:4], v[5:6], v[1:2]
	ds_write_b128 v255, v[180:183] offset:11520
.LBB0_9:
	s_or_b64 exec, exec, s[2:3]
	s_waitcnt lgkmcnt(0)
	s_barrier
	s_and_saveexec_b64 s[2:3], s[0:1]
	s_cbranch_execz .LBB0_11
; %bb.10:
	ds_read_b128 v[120:123], v255
	ds_read_b128 v[124:127], v255 offset:720
	ds_read_b128 v[128:131], v255 offset:1440
	;; [unrolled: 1-line block ×16, first 2 shown]
.LBB0_11:
	s_or_b64 exec, exec, s[2:3]
	v_add_u32_e32 v182, 0x660, v0
	v_add_u32_e32 v181, 0x990, v0
	;; [unrolled: 1-line block ×3, first 2 shown]
	s_waitcnt lgkmcnt(0)
	s_barrier
	s_and_saveexec_b64 s[2:3], s[0:1]
	s_cbranch_execz .LBB0_13
; %bb.12:
	v_add_f64 v[16:17], v[144:145], -v[164:165]
	s_mov_b32 s44, 0x7c9e640b
	s_mov_b32 s45, 0x3feca52d
	buffer_store_dword v217, off, s[64:67], 0 offset:156 ; 4-byte Folded Spill
	s_nop 0
	buffer_store_dword v218, off, s[64:67], 0 offset:160 ; 4-byte Folded Spill
	buffer_store_dword v219, off, s[64:67], 0 offset:164 ; 4-byte Folded Spill
	buffer_store_dword v220, off, s[64:67], 0 offset:168 ; 4-byte Folded Spill
	v_add_f64 v[188:189], v[124:125], -v[241:242]
	buffer_store_dword v182, off, s[64:67], 0 offset:244 ; 4-byte Folded Spill
	v_add_f64 v[235:236], v[126:127], v[243:244]
	buffer_store_dword v186, off, s[64:67], 0 offset:232 ; 4-byte Folded Spill
	v_mov_b32_e32 v21, v17
	buffer_store_dword v229, off, s[64:67], 0 offset:220 ; 4-byte Folded Spill
	buffer_store_dword v225, off, s[64:67], 0 offset:204 ; 4-byte Folded Spill
	s_nop 0
	buffer_store_dword v226, off, s[64:67], 0 offset:208 ; 4-byte Folded Spill
	buffer_store_dword v227, off, s[64:67], 0 offset:212 ; 4-byte Folded Spill
	;; [unrolled: 1-line block ×3, first 2 shown]
	v_mul_f64 v[198:199], v[16:17], s[44:45]
	v_mov_b32_e32 v20, v16
	buffer_store_dword v204, off, s[64:67], 0 offset:108 ; 4-byte Folded Spill
	s_nop 0
	buffer_store_dword v205, off, s[64:67], 0 offset:112 ; 4-byte Folded Spill
	buffer_store_dword v206, off, s[64:67], 0 offset:116 ; 4-byte Folded Spill
	;; [unrolled: 1-line block ×4, first 2 shown]
	s_nop 0
	buffer_store_dword v222, off, s[64:67], 0 offset:192 ; 4-byte Folded Spill
	buffer_store_dword v223, off, s[64:67], 0 offset:196 ; 4-byte Folded Spill
	;; [unrolled: 1-line block ×3, first 2 shown]
	v_add_f64 v[16:17], v[126:127], -v[243:244]
	buffer_store_dword v241, off, s[64:67], 0 offset:24 ; 4-byte Folded Spill
	s_nop 0
	buffer_store_dword v242, off, s[64:67], 0 offset:28 ; 4-byte Folded Spill
	buffer_store_dword v243, off, s[64:67], 0 offset:32 ; 4-byte Folded Spill
	buffer_store_dword v244, off, s[64:67], 0 offset:36 ; 4-byte Folded Spill
	v_add_f64 v[0:1], v[152:153], -v[156:157]
	s_mov_b32 s52, 0xeb564b22
	s_mov_b32 s18, 0xacd6c6b4
	;; [unrolled: 1-line block ×4, first 2 shown]
	v_add_f64 v[184:185], v[128:129], -v[237:238]
	s_mov_b32 s40, 0x5d8e7cdc
	s_mov_b32 s8, 0x7faef3
	v_mov_b32_e32 v15, v1
	v_mul_f64 v[182:183], v[0:1], s[52:53]
	v_mov_b32_e32 v14, v0
	v_mul_f64 v[0:1], v[188:189], s[18:19]
	v_add_f64 v[4:5], v[132:133], -v[176:177]
	s_mov_b32 s41, 0x3fd71e95
	s_mov_b32 s9, 0xbfef7484
	v_mul_f64 v[8:9], v[184:185], s[40:41]
	v_add_f64 v[231:232], v[130:131], v[239:240]
	s_mov_b32 s24, 0x4363dd80
	s_mov_b32 s20, 0x370991
	v_fma_f64 v[2:3], v[235:236], s[8:9], v[0:1]
	v_add_f64 v[6:7], v[136:137], -v[172:173]
	s_mov_b32 s25, 0xbfe0d888
	v_mov_b32_e32 v43, v5
	s_mov_b32 s21, 0x3fedd6d0
	v_mul_f64 v[186:187], v[4:5], s[24:25]
	v_mov_b32_e32 v42, v4
	v_add_f64 v[233:234], v[134:135], v[178:179]
	v_fma_f64 v[4:5], v[231:232], s[20:21], v[8:9]
	v_add_f64 v[2:3], v[122:123], v[2:3]
	s_mov_b32 s48, 0x2a9d6da3
	s_mov_b32 s10, 0x910ea3b9
	;; [unrolled: 1-line block ×3, first 2 shown]
	v_mov_b32_e32 v23, v7
	s_mov_b32 s11, 0xbfeb34fa
	v_add_f64 v[18:19], v[140:141], -v[168:169]
	v_mul_f64 v[192:193], v[6:7], s[48:49]
	v_mov_b32_e32 v22, v6
	v_add_f64 v[229:230], v[138:139], v[174:175]
	v_fma_f64 v[6:7], v[233:234], s[10:11], v[186:187]
	v_add_f64 v[2:3], v[4:5], v[2:3]
	s_mov_b32 s26, 0x6c9a05f6
	s_mov_b32 s22, 0x75d4884
	;; [unrolled: 1-line block ×4, first 2 shown]
	v_mul_f64 v[196:197], v[18:19], s[26:27]
	v_add_f64 v[227:228], v[142:143], v[170:171]
	v_fma_f64 v[4:5], v[229:230], s[22:23], v[192:193]
	v_add_f64 v[2:3], v[6:7], v[2:3]
	s_mov_b32 s16, 0x6ed5f1bb
	s_mov_b32 s17, 0xbfe348c8
	v_mul_f64 v[194:195], v[16:17], s[18:19]
	buffer_store_dword v52, off, s[64:67], 0 offset:272 ; 4-byte Folded Spill
	s_nop 0
	buffer_store_dword v53, off, s[64:67], 0 offset:276 ; 4-byte Folded Spill
	buffer_store_dword v54, off, s[64:67], 0 offset:280 ; 4-byte Folded Spill
	;; [unrolled: 1-line block ×4, first 2 shown]
	s_nop 0
	buffer_store_dword v209, off, s[64:67], 0 offset:128 ; 4-byte Folded Spill
	buffer_store_dword v210, off, s[64:67], 0 offset:132 ; 4-byte Folded Spill
	;; [unrolled: 1-line block ×3, first 2 shown]
	v_fma_f64 v[6:7], v[227:228], s[16:17], v[196:197]
	buffer_store_dword v180, off, s[64:67], 0 offset:236 ; 4-byte Folded Spill
	buffer_store_dword v181, off, s[64:67], 0 offset:240 ; 4-byte Folded Spill
	v_add_f64 v[2:3], v[4:5], v[2:3]
	buffer_store_dword v212, off, s[64:67], 0 offset:140 ; 4-byte Folded Spill
	s_nop 0
	buffer_store_dword v213, off, s[64:67], 0 offset:144 ; 4-byte Folded Spill
	buffer_store_dword v214, off, s[64:67], 0 offset:148 ; 4-byte Folded Spill
	;; [unrolled: 1-line block ×4, first 2 shown]
	s_nop 0
	buffer_store_dword v246, off, s[64:67], 0 offset:228 ; 4-byte Folded Spill
	v_add_f64 v[54:55], v[134:135], -v[178:179]
	v_add_f64 v[245:246], v[128:129], v[237:238]
	buffer_store_dword v203, off, s[64:67], 0 offset:248 ; 4-byte Folded Spill
	v_fma_f64 v[210:211], v[235:236], s[8:9], -v[0:1]
	v_add_f64 v[10:11], v[138:139], -v[174:175]
	v_add_f64 v[2:3], v[6:7], v[2:3]
	v_add_f64 v[6:7], v[130:131], -v[239:240]
	buffer_store_dword v237, off, s[64:67], 0 offset:8 ; 4-byte Folded Spill
	s_nop 0
	buffer_store_dword v238, off, s[64:67], 0 offset:12 ; 4-byte Folded Spill
	buffer_store_dword v239, off, s[64:67], 0 offset:16 ; 4-byte Folded Spill
	;; [unrolled: 1-line block ×3, first 2 shown]
	v_add_f64 v[0:1], v[132:133], v[176:177]
	v_mul_f64 v[214:215], v[54:55], s[24:25]
	v_fma_f64 v[239:240], v[231:232], s[20:21], -v[8:9]
	v_add_f64 v[210:211], v[122:123], v[210:211]
	v_add_f64 v[221:222], v[142:143], -v[170:171]
	v_add_f64 v[225:226], v[146:147], v[166:167]
	v_mul_f64 v[200:201], v[6:7], s[40:41]
	v_add_f64 v[243:244], v[146:147], -v[166:167]
	v_fma_f64 v[186:187], v[233:234], s[10:11], -v[186:187]
	v_fma_f64 v[249:250], v[0:1], s[10:11], -v[214:215]
	v_add_f64 v[247:248], v[124:125], v[241:242]
	v_mul_f64 v[241:242], v[10:11], s[48:49]
	v_add_f64 v[210:211], v[239:240], v[210:211]
	v_mul_f64 v[239:240], v[221:222], s[26:27]
	v_fma_f64 v[219:220], v[245:246], s[20:21], -v[200:201]
	s_mov_b32 s36, 0x2b2883cd
	s_mov_b32 s37, 0x3fdc86fa
	v_add_f64 v[12:13], v[148:149], -v[160:161]
	v_fma_f64 v[202:203], v[247:248], s[8:9], -v[194:195]
	v_fma_f64 v[194:195], v[247:248], s[8:9], v[194:195]
	v_fma_f64 v[4:5], v[225:226], s[36:37], v[198:199]
	v_add_f64 v[76:77], v[150:151], -v[162:163]
	v_fma_f64 v[192:193], v[229:230], s[22:23], -v[192:193]
	v_add_f64 v[186:187], v[186:187], v[210:211]
	v_fma_f64 v[210:211], v[0:1], s[10:11], v[214:215]
	s_mov_b32 s28, 0x923c349f
	v_add_f64 v[237:238], v[120:121], v[202:203]
	v_add_f64 v[202:203], v[136:137], v[172:173]
	;; [unrolled: 1-line block ×3, first 2 shown]
	s_mov_b32 s29, 0xbfeec746
	v_mul_f64 v[204:205], v[12:13], s[28:29]
	v_add_f64 v[223:224], v[150:151], v[162:163]
	v_add_f64 v[208:209], v[4:5], v[2:3]
	v_add_f64 v[4:5], v[154:155], -v[158:159]
	v_add_f64 v[219:220], v[219:220], v[237:238]
	v_fma_f64 v[237:238], v[245:246], s[20:21], v[200:201]
	v_add_f64 v[200:201], v[140:141], v[168:169]
	v_fma_f64 v[251:252], v[202:203], s[22:23], -v[241:242]
	v_fma_f64 v[196:197], v[227:228], s[16:17], -v[196:197]
	v_add_f64 v[186:187], v[192:193], v[186:187]
	v_fma_f64 v[241:242], v[202:203], s[22:23], v[241:242]
	v_add_f64 v[192:193], v[148:149], v[160:161]
	v_add_f64 v[219:220], v[249:250], v[219:220]
	v_add_f64 v[214:215], v[237:238], v[194:195]
	v_add_f64 v[194:195], v[144:145], v[164:165]
	v_mul_f64 v[237:238], v[243:244], s[44:45]
	v_fma_f64 v[249:250], v[200:201], s[16:17], -v[239:240]
	s_mov_b32 s30, 0xc61f0d01
	s_mov_b32 s31, 0xbfd183b1
	v_add_f64 v[217:218], v[154:155], v[158:159]
	v_add_f64 v[219:220], v[251:252], v[219:220]
	;; [unrolled: 1-line block ×3, first 2 shown]
	v_mul_f64 v[214:215], v[76:77], s[28:29]
	v_fma_f64 v[251:252], v[194:195], s[36:37], -v[237:238]
	v_fma_f64 v[206:207], v[223:224], s[30:31], v[204:205]
	v_fma_f64 v[198:199], v[225:226], s[36:37], -v[198:199]
	v_add_f64 v[196:197], v[196:197], v[186:187]
	v_add_f64 v[186:187], v[152:153], v[156:157]
	;; [unrolled: 1-line block ×4, first 2 shown]
	v_mul_f64 v[241:242], v[4:5], s[52:53]
	v_fma_f64 v[249:250], v[192:193], s[30:31], -v[214:215]
	v_fma_f64 v[239:240], v[200:201], s[16:17], v[239:240]
	s_mov_b32 s34, 0x3259b75e
	s_mov_b32 s35, 0x3fb79ee6
	v_add_f64 v[196:197], v[198:199], v[196:197]
	v_add_f64 v[219:220], v[251:252], v[219:220]
	v_fma_f64 v[198:199], v[194:195], s[36:37], v[237:238]
	v_fma_f64 v[237:238], v[217:218], s[34:35], v[182:183]
	v_add_f64 v[206:207], v[206:207], v[208:209]
	v_fma_f64 v[208:209], v[186:187], s[34:35], -v[241:242]
	v_fma_f64 v[204:205], v[223:224], s[30:31], -v[204:205]
	v_add_f64 v[210:211], v[239:240], v[210:211]
	v_mov_b32_e32 v181, v7
	v_add_f64 v[219:220], v[249:250], v[219:220]
	v_mov_b32_e32 v9, v5
	v_mov_b32_e32 v180, v6
	;; [unrolled: 1-line block ×3, first 2 shown]
	v_add_f64 v[6:7], v[237:238], v[206:207]
	v_fma_f64 v[182:183], v[217:218], s[34:35], -v[182:183]
	v_add_f64 v[196:197], v[204:205], v[196:197]
	v_fma_f64 v[204:205], v[192:193], s[30:31], v[214:215]
	v_add_f64 v[4:5], v[208:209], v[219:220]
	v_add_f64 v[198:199], v[198:199], v[210:211]
	buffer_store_dword v4, off, s[64:67], 0 offset:252 ; 4-byte Folded Spill
	s_nop 0
	buffer_store_dword v5, off, s[64:67], 0 offset:256 ; 4-byte Folded Spill
	buffer_store_dword v6, off, s[64:67], 0 offset:260 ; 4-byte Folded Spill
	;; [unrolled: 1-line block ×3, first 2 shown]
	v_add_f64 v[6:7], v[182:183], v[196:197]
	v_add_f64 v[196:197], v[204:205], v[198:199]
	v_mul_f64 v[204:205], v[188:189], s[24:25]
	v_mov_b32_e32 v38, v116
	v_mov_b32_e32 v53, v17
	;; [unrolled: 1-line block ×11, first 2 shown]
	v_fma_f64 v[182:183], v[186:187], s[34:35], v[241:242]
	v_mul_f64 v[239:240], v[184:185], s[44:45]
	v_fma_f64 v[241:242], v[235:236], s[10:11], v[204:205]
	v_mov_b32_e32 v112, v110
	v_mov_b32_e32 v111, v109
	;; [unrolled: 1-line block ×4, first 2 shown]
	v_mul_f64 v[251:252], v[52:53], s[24:25]
	v_mov_b32_e32 v108, v106
	v_mov_b32_e32 v107, v105
	;; [unrolled: 1-line block ×34, first 2 shown]
	s_mov_b32 s43, 0xbfefdd0d
	s_mov_b32 s42, s52
	v_mov_b32_e32 v118, v42
	v_mov_b32_e32 v32, v14
	;; [unrolled: 1-line block ×5, first 2 shown]
	v_mul_f64 v[253:254], v[118:119], s[42:43]
	v_fma_f64 v[12:13], v[231:232], s[36:37], v[239:240]
	v_add_f64 v[14:15], v[122:123], v[241:242]
	v_mul_f64 v[16:17], v[180:181], s[44:45]
	v_fma_f64 v[18:19], v[247:248], s[10:11], -v[251:252]
	v_fma_f64 v[22:23], v[235:236], s[10:11], -v[204:205]
	s_mov_b32 s57, 0x3fe9895b
	s_mov_b32 s56, s26
	buffer_store_dword v24, off, s[64:67], 0 offset:92 ; 4-byte Folded Spill
	s_nop 0
	buffer_store_dword v25, off, s[64:67], 0 offset:96 ; 4-byte Folded Spill
	buffer_store_dword v26, off, s[64:67], 0 offset:100 ; 4-byte Folded Spill
	;; [unrolled: 1-line block ×3, first 2 shown]
	v_mul_f64 v[249:250], v[80:81], s[56:57]
	v_fma_f64 v[204:205], v[233:234], s[34:35], v[253:254]
	v_fma_f64 v[251:252], v[247:248], s[10:11], v[251:252]
	v_add_f64 v[12:13], v[12:13], v[14:15]
	v_mul_f64 v[14:15], v[54:55], s[42:43]
	v_fma_f64 v[24:25], v[245:246], s[36:37], -v[16:17]
	v_add_f64 v[18:19], v[120:121], v[18:19]
	v_fma_f64 v[26:27], v[231:232], s[36:37], -v[239:240]
	v_add_f64 v[22:23], v[122:123], v[22:23]
	v_mov_b32_e32 v79, v21
	s_mov_b32 s39, 0xbfd71e95
	s_mov_b32 s38, s40
	v_mul_f64 v[214:215], v[20:21], s[18:19]
	v_mov_b32_e32 v78, v20
	v_mul_f64 v[237:238], v[10:11], s[38:39]
	v_fma_f64 v[20:21], v[229:230], s[16:17], v[249:250]
	v_fma_f64 v[16:17], v[245:246], s[36:37], v[16:17]
	v_add_f64 v[239:240], v[120:121], v[251:252]
	v_add_f64 v[12:13], v[204:205], v[12:13]
	v_mul_f64 v[204:205], v[212:213], s[56:57]
	v_fma_f64 v[251:252], v[0:1], s[34:35], -v[14:15]
	v_add_f64 v[18:19], v[24:25], v[18:19]
	v_fma_f64 v[24:25], v[233:234], s[34:35], -v[253:254]
	v_add_f64 v[22:23], v[26:27], v[22:23]
	v_fma_f64 v[241:242], v[227:228], s[20:21], v[237:238]
	v_fma_f64 v[14:15], v[0:1], s[34:35], v[14:15]
	v_add_f64 v[16:17], v[16:17], v[239:240]
	v_add_f64 v[12:13], v[20:21], v[12:13]
	v_mul_f64 v[20:21], v[221:222], s[38:39]
	v_fma_f64 v[26:27], v[202:203], s[16:17], -v[204:205]
	v_add_f64 v[18:19], v[251:252], v[18:19]
	v_fma_f64 v[239:240], v[229:230], s[16:17], -v[249:250]
	v_add_f64 v[22:23], v[24:25], v[22:23]
	;; [unrolled: 9-line block ×3, first 2 shown]
	v_mul_f64 v[206:207], v[2:3], s[48:49]
	v_fma_f64 v[20:21], v[200:201], s[20:21], v[20:21]
	v_add_f64 v[14:15], v[24:25], v[14:15]
	v_add_f64 v[12:13], v[219:220], v[12:13]
	v_mul_f64 v[24:25], v[76:77], s[48:49]
	v_fma_f64 v[219:220], v[194:195], s[8:9], -v[16:17]
	v_add_f64 v[18:19], v[204:205], v[18:19]
	v_fma_f64 v[204:205], v[225:226], s[8:9], -v[214:215]
	v_add_f64 v[22:23], v[26:27], v[22:23]
	v_mul_f64 v[210:211], v[32:33], s[28:29]
	v_fma_f64 v[208:209], v[223:224], s[22:23], v[206:207]
	v_fma_f64 v[16:17], v[194:195], s[8:9], v[16:17]
	v_add_f64 v[14:15], v[20:21], v[14:15]
	v_fma_f64 v[26:27], v[192:193], s[22:23], -v[24:25]
	v_add_f64 v[18:19], v[219:220], v[18:19]
	v_fma_f64 v[206:207], v[223:224], s[22:23], -v[206:207]
	v_add_f64 v[22:23], v[204:205], v[22:23]
	v_add_f64 v[4:5], v[182:183], v[196:197]
	v_mul_f64 v[182:183], v[188:189], s[26:27]
	v_mul_f64 v[204:205], v[52:53], s[26:27]
	s_mov_b32 s55, 0x3feec746
	s_mov_b32 s54, s28
	v_fma_f64 v[198:199], v[217:218], s[30:31], v[210:211]
	v_add_f64 v[14:15], v[16:17], v[14:15]
	v_add_f64 v[16:17], v[26:27], v[18:19]
	v_fma_f64 v[18:19], v[217:218], s[30:31], -v[210:211]
	v_add_f64 v[22:23], v[206:207], v[22:23]
	v_mul_f64 v[206:207], v[184:185], s[54:55]
	v_fma_f64 v[210:211], v[235:236], s[16:17], v[182:183]
	v_mul_f64 v[239:240], v[180:181], s[54:55]
	v_fma_f64 v[241:242], v[247:248], s[16:17], -v[204:205]
	v_fma_f64 v[182:183], v[235:236], s[16:17], -v[182:183]
	buffer_store_dword v4, off, s[64:67], 0 offset:288 ; 4-byte Folded Spill
	s_nop 0
	buffer_store_dword v5, off, s[64:67], 0 offset:292 ; 4-byte Folded Spill
	buffer_store_dword v6, off, s[64:67], 0 offset:296 ; 4-byte Folded Spill
	buffer_store_dword v7, off, s[64:67], 0 offset:300 ; 4-byte Folded Spill
	buffer_store_dword v68, off, s[64:67], 0 offset:336 ; 4-byte Folded Spill
	s_nop 0
	buffer_store_dword v69, off, s[64:67], 0 offset:340 ; 4-byte Folded Spill
	buffer_store_dword v70, off, s[64:67], 0 offset:344 ; 4-byte Folded Spill
	buffer_store_dword v71, off, s[64:67], 0 offset:348 ; 4-byte Folded Spill
	;; [unrolled: 5-line block ×3, first 2 shown]
	v_fma_f64 v[24:25], v[192:193], s[22:23], v[24:25]
	v_mul_f64 v[219:220], v[118:119], s[38:39]
	v_fma_f64 v[249:250], v[231:232], s[30:31], v[206:207]
	v_add_f64 v[210:211], v[122:123], v[210:211]
	v_mul_f64 v[28:29], v[54:55], s[38:39]
	v_fma_f64 v[30:31], v[245:246], s[30:31], -v[239:240]
	v_add_f64 v[241:242], v[120:121], v[241:242]
	v_fma_f64 v[206:207], v[231:232], s[30:31], -v[206:207]
	v_add_f64 v[182:183], v[122:123], v[182:183]
	v_mov_b32_e32 v71, v33
	buffer_store_dword v34, off, s[64:67], 0 offset:76 ; 4-byte Folded Spill
	s_nop 0
	buffer_store_dword v35, off, s[64:67], 0 offset:80 ; 4-byte Folded Spill
	buffer_store_dword v36, off, s[64:67], 0 offset:84 ; 4-byte Folded Spill
	;; [unrolled: 1-line block ×3, first 2 shown]
	v_add_f64 v[12:13], v[208:209], v[12:13]
	v_add_f64 v[14:15], v[24:25], v[14:15]
	v_mul_f64 v[24:25], v[32:33], s[44:45]
	v_mov_b32_e32 v70, v32
	v_mul_f64 v[251:252], v[80:81], s[24:25]
	v_fma_f64 v[253:254], v[233:234], s[20:21], v[219:220]
	v_add_f64 v[210:211], v[249:250], v[210:211]
	v_mul_f64 v[32:33], v[212:213], s[24:25]
	v_fma_f64 v[34:35], v[247:248], s[16:17], v[204:205]
	v_fma_f64 v[204:205], v[0:1], s[20:21], -v[28:29]
	v_add_f64 v[30:31], v[30:31], v[241:242]
	v_fma_f64 v[219:220], v[233:234], s[20:21], -v[219:220]
	v_add_f64 v[182:183], v[206:207], v[182:183]
	v_add_f64 v[4:5], v[198:199], v[12:13]
	v_mul_f64 v[198:199], v[10:11], s[52:53]
	v_fma_f64 v[249:250], v[229:230], s[10:11], v[251:252]
	v_add_f64 v[206:207], v[253:254], v[210:211]
	v_mul_f64 v[210:211], v[221:222], s[52:53]
	v_fma_f64 v[239:240], v[245:246], s[30:31], v[239:240]
	v_add_f64 v[34:35], v[120:121], v[34:35]
	v_fma_f64 v[241:242], v[202:203], s[10:11], -v[32:33]
	v_add_f64 v[30:31], v[204:205], v[30:31]
	v_fma_f64 v[204:205], v[229:230], s[10:11], -v[251:252]
	v_add_f64 v[182:183], v[219:220], v[182:183]
	v_mul_f64 v[20:21], v[8:9], s[28:29]
	s_mov_b32 s47, 0xbfe58eea
	s_mov_b32 s46, s48
	v_mul_f64 v[196:197], v[78:79], s[46:47]
	v_fma_f64 v[237:238], v[227:228], s[34:35], v[198:199]
	v_add_f64 v[206:207], v[249:250], v[206:207]
	v_mul_f64 v[219:220], v[243:244], s[46:47]
	v_fma_f64 v[28:29], v[0:1], s[20:21], v[28:29]
	v_add_f64 v[34:35], v[239:240], v[34:35]
	v_fma_f64 v[239:240], v[200:201], s[34:35], -v[210:211]
	v_add_f64 v[30:31], v[241:242], v[30:31]
	v_fma_f64 v[198:199], v[227:228], s[34:35], -v[198:199]
	;; [unrolled: 2-line block ×3, first 2 shown]
	v_mul_f64 v[26:27], v[2:3], s[18:19]
	v_fma_f64 v[214:215], v[225:226], s[22:23], v[196:197]
	v_add_f64 v[204:205], v[237:238], v[206:207]
	v_mul_f64 v[206:207], v[76:77], s[18:19]
	v_fma_f64 v[32:33], v[202:203], s[10:11], v[32:33]
	v_add_f64 v[28:29], v[28:29], v[34:35]
	v_fma_f64 v[34:35], v[194:195], s[22:23], -v[219:220]
	v_add_f64 v[30:31], v[239:240], v[30:31]
	v_fma_f64 v[196:197], v[225:226], s[22:23], -v[196:197]
	v_add_f64 v[182:183], v[198:199], v[182:183]
	v_mov_b32_e32 v69, v3
	v_mov_b32_e32 v68, v2
	v_add_f64 v[2:3], v[12:13], v[16:17]
	v_fma_f64 v[20:21], v[186:187], s[30:31], v[20:21]
	v_fma_f64 v[208:209], v[223:224], s[8:9], v[26:27]
	v_add_f64 v[198:199], v[214:215], v[204:205]
	v_mul_f64 v[204:205], v[8:9], s[44:45]
	v_fma_f64 v[210:211], v[200:201], s[34:35], v[210:211]
	v_add_f64 v[28:29], v[32:33], v[28:29]
	v_fma_f64 v[32:33], v[192:193], s[8:9], -v[206:207]
	v_add_f64 v[30:31], v[34:35], v[30:31]
	v_fma_f64 v[26:27], v[223:224], s[8:9], -v[26:27]
	v_add_f64 v[34:35], v[196:197], v[182:183]
	buffer_store_dword v2, off, s[64:67], 0 offset:304 ; 4-byte Folded Spill
	s_nop 0
	buffer_store_dword v3, off, s[64:67], 0 offset:308 ; 4-byte Folded Spill
	buffer_store_dword v4, off, s[64:67], 0 offset:312 ; 4-byte Folded Spill
	;; [unrolled: 1-line block ×3, first 2 shown]
	v_add_f64 v[4:5], v[18:19], v[22:23]
	v_add_f64 v[2:3], v[20:21], v[14:15]
	v_fma_f64 v[182:183], v[217:218], s[36:37], v[24:25]
	v_add_f64 v[196:197], v[208:209], v[198:199]
	v_fma_f64 v[198:199], v[194:195], s[22:23], v[219:220]
	v_add_f64 v[28:29], v[210:211], v[28:29]
	v_fma_f64 v[208:209], v[186:187], s[36:37], -v[204:205]
	v_add_f64 v[30:31], v[32:33], v[30:31]
	v_fma_f64 v[24:25], v[217:218], s[36:37], -v[24:25]
	v_add_f64 v[26:27], v[26:27], v[34:35]
	v_mul_f64 v[20:21], v[188:189], s[28:29]
	v_mul_f64 v[22:23], v[52:53], s[28:29]
	v_mov_b32_e32 v6, v180
	v_mov_b32_e32 v42, v78
	buffer_store_dword v2, off, s[64:67], 0 offset:352 ; 4-byte Folded Spill
	s_nop 0
	buffer_store_dword v3, off, s[64:67], 0 offset:356 ; 4-byte Folded Spill
	buffer_store_dword v4, off, s[64:67], 0 offset:360 ; 4-byte Folded Spill
	;; [unrolled: 1-line block ×3, first 2 shown]
	s_mov_b32 s59, 0x3fe0d888
	s_mov_b32 s58, s24
	v_mov_b32_e32 v7, v181
	v_mov_b32_e32 v43, v79
	v_add_f64 v[16:17], v[198:199], v[28:29]
	v_add_f64 v[2:3], v[208:209], v[30:31]
	;; [unrolled: 1-line block ×3, first 2 shown]
	v_mul_f64 v[24:25], v[184:185], s[58:59]
	v_fma_f64 v[28:29], v[235:236], s[30:31], v[20:21]
	v_mul_f64 v[30:31], v[6:7], s[58:59]
	v_fma_f64 v[32:33], v[247:248], s[30:31], -v[22:23]
	v_add_f64 v[4:5], v[182:183], v[196:197]
	v_mov_b32_e32 v181, v119
	v_mov_b32_e32 v180, v118
	v_mul_f64 v[34:35], v[180:181], s[48:49]
	v_fma_f64 v[182:183], v[231:232], s[10:11], v[24:25]
	v_fma_f64 v[20:21], v[235:236], s[30:31], -v[20:21]
	v_add_f64 v[28:29], v[122:123], v[28:29]
	v_mul_f64 v[196:197], v[54:55], s[48:49]
	v_fma_f64 v[198:199], v[245:246], s[10:11], -v[30:31]
	v_add_f64 v[32:33], v[120:121], v[32:33]
	buffer_store_dword v2, off, s[64:67], 0 offset:320 ; 4-byte Folded Spill
	s_nop 0
	buffer_store_dword v3, off, s[64:67], 0 offset:324 ; 4-byte Folded Spill
	buffer_store_dword v4, off, s[64:67], 0 offset:328 ; 4-byte Folded Spill
	;; [unrolled: 1-line block ×3, first 2 shown]
	v_mov_b32_e32 v4, v80
	v_mov_b32_e32 v220, v213
	s_mov_b32 s51, 0xbfeca52d
	s_mov_b32 s50, s44
	v_mov_b32_e32 v5, v81
	v_mov_b32_e32 v219, v212
	v_fma_f64 v[12:13], v[192:193], s[8:9], v[206:207]
	v_fma_f64 v[14:15], v[186:187], s[36:37], v[204:205]
	v_mul_f64 v[204:205], v[4:5], s[50:51]
	v_fma_f64 v[206:207], v[233:234], s[22:23], v[34:35]
	v_fma_f64 v[24:25], v[231:232], s[10:11], -v[24:25]
	v_add_f64 v[20:21], v[122:123], v[20:21]
	v_add_f64 v[28:29], v[182:183], v[28:29]
	v_mul_f64 v[182:183], v[219:220], s[50:51]
	v_fma_f64 v[208:209], v[0:1], s[22:23], -v[196:197]
	v_add_f64 v[32:33], v[198:199], v[32:33]
	v_mov_b32_e32 v2, v10
	v_mov_b32_e32 v3, v11
	v_mul_f64 v[198:199], v[2:3], s[18:19]
	v_fma_f64 v[210:211], v[229:230], s[36:37], v[204:205]
	v_fma_f64 v[34:35], v[233:234], s[22:23], -v[34:35]
	v_add_f64 v[20:21], v[24:25], v[20:21]
	v_add_f64 v[24:25], v[206:207], v[28:29]
	v_mul_f64 v[28:29], v[221:222], s[18:19]
	v_fma_f64 v[206:207], v[202:203], s[36:37], -v[182:183]
	v_add_f64 v[32:33], v[208:209], v[32:33]
	v_mul_f64 v[208:209], v[42:43], s[52:53]
	v_fma_f64 v[214:215], v[227:228], s[8:9], v[198:199]
	v_fma_f64 v[204:205], v[229:230], s[36:37], -v[204:205]
	v_add_f64 v[20:21], v[34:35], v[20:21]
	v_add_f64 v[24:25], v[210:211], v[24:25]
	v_mul_f64 v[34:35], v[243:244], s[52:53]
	v_fma_f64 v[210:211], v[200:201], s[8:9], -v[28:29]
	v_add_f64 v[32:33], v[206:207], v[32:33]
	v_mov_b32_e32 v213, v77
	v_mov_b32_e32 v212, v76
	v_mul_f64 v[18:19], v[68:69], s[38:39]
	v_fma_f64 v[206:207], v[225:226], s[34:35], v[208:209]
	v_fma_f64 v[198:199], v[227:228], s[8:9], -v[198:199]
	v_fma_f64 v[22:23], v[247:248], s[30:31], v[22:23]
	v_add_f64 v[20:21], v[204:205], v[20:21]
	v_add_f64 v[24:25], v[214:215], v[24:25]
	v_mul_f64 v[204:205], v[212:213], s[38:39]
	v_fma_f64 v[214:215], v[194:195], s[34:35], -v[34:35]
	v_add_f64 v[32:33], v[210:211], v[32:33]
	v_mov_b32_e32 v37, v9
	v_add_f64 v[12:13], v[12:13], v[16:17]
	v_mov_b32_e32 v36, v8
	v_mul_f64 v[16:17], v[70:71], s[26:27]
	v_fma_f64 v[26:27], v[223:224], s[20:21], v[18:19]
	v_fma_f64 v[30:31], v[245:246], s[10:11], v[30:31]
	v_add_f64 v[22:23], v[120:121], v[22:23]
	v_add_f64 v[20:21], v[198:199], v[20:21]
	;; [unrolled: 1-line block ×3, first 2 shown]
	v_mul_f64 v[198:199], v[36:37], s[26:27]
	v_fma_f64 v[206:207], v[192:193], s[20:21], -v[204:205]
	v_add_f64 v[32:33], v[214:215], v[32:33]
	v_fma_f64 v[208:209], v[225:226], s[34:35], -v[208:209]
	v_add_f64 v[76:77], v[14:15], v[12:13]
	v_add_f64 v[22:23], v[30:31], v[22:23]
	v_fma_f64 v[30:31], v[217:218], s[16:17], v[16:17]
	v_add_f64 v[24:25], v[26:27], v[24:25]
	v_fma_f64 v[26:27], v[186:187], s[16:17], -v[198:199]
	v_fma_f64 v[18:19], v[223:224], s[20:21], -v[18:19]
	v_add_f64 v[32:33], v[206:207], v[32:33]
	v_fma_f64 v[196:197], v[0:1], s[22:23], v[196:197]
	v_add_f64 v[20:21], v[208:209], v[20:21]
	buffer_store_dword v76, off, s[64:67], 0 offset:384 ; 4-byte Folded Spill
	s_nop 0
	buffer_store_dword v77, off, s[64:67], 0 offset:388 ; 4-byte Folded Spill
	buffer_store_dword v78, off, s[64:67], 0 offset:392 ; 4-byte Folded Spill
	;; [unrolled: 1-line block ×3, first 2 shown]
	v_fma_f64 v[16:17], v[217:218], s[16:17], -v[16:17]
	v_add_f64 v[78:79], v[30:31], v[24:25]
	v_fma_f64 v[182:183], v[202:203], s[36:37], v[182:183]
	v_mul_f64 v[12:13], v[188:189], s[42:43]
	v_add_f64 v[76:77], v[26:27], v[32:33]
	v_add_f64 v[22:23], v[196:197], v[22:23]
	;; [unrolled: 1-line block ×3, first 2 shown]
	v_mul_f64 v[20:21], v[52:53], s[42:43]
	buffer_store_dword v76, off, s[64:67], 0 offset:368 ; 4-byte Folded Spill
	s_nop 0
	buffer_store_dword v77, off, s[64:67], 0 offset:372 ; 4-byte Folded Spill
	buffer_store_dword v78, off, s[64:67], 0 offset:376 ; 4-byte Folded Spill
	;; [unrolled: 1-line block ×3, first 2 shown]
	v_fma_f64 v[14:15], v[200:201], s[8:9], v[28:29]
	v_add_f64 v[22:23], v[182:183], v[22:23]
	v_add_f64 v[78:79], v[16:17], v[18:19]
	v_mul_f64 v[18:19], v[184:185], s[18:19]
	v_fma_f64 v[24:25], v[235:236], s[34:35], v[12:13]
	v_mul_f64 v[28:29], v[6:7], s[18:19]
	v_fma_f64 v[30:31], v[247:248], s[34:35], -v[20:21]
	v_fma_f64 v[26:27], v[194:195], s[34:35], v[34:35]
	v_mul_f64 v[32:33], v[180:181], s[54:55]
	v_add_f64 v[14:15], v[14:15], v[22:23]
	v_mul_f64 v[182:183], v[54:55], s[54:55]
	v_fma_f64 v[34:35], v[231:232], s[8:9], v[18:19]
	v_add_f64 v[24:25], v[122:123], v[24:25]
	v_fma_f64 v[196:197], v[245:246], s[8:9], -v[28:29]
	v_add_f64 v[30:31], v[120:121], v[30:31]
	v_fma_f64 v[16:17], v[186:187], s[16:17], v[198:199]
	v_fma_f64 v[22:23], v[192:193], s[20:21], v[204:205]
	v_add_f64 v[14:15], v[26:27], v[14:15]
	v_fma_f64 v[12:13], v[235:236], s[34:35], -v[12:13]
	v_mul_f64 v[26:27], v[4:5], s[40:41]
	v_fma_f64 v[198:199], v[233:234], s[30:31], v[32:33]
	v_add_f64 v[24:25], v[34:35], v[24:25]
	v_mul_f64 v[34:35], v[219:220], s[40:41]
	v_fma_f64 v[204:205], v[0:1], s[30:31], -v[182:183]
	v_add_f64 v[30:31], v[196:197], v[30:31]
	v_fma_f64 v[18:19], v[231:232], s[8:9], -v[18:19]
	v_add_f64 v[12:13], v[122:123], v[12:13]
	v_mul_f64 v[196:197], v[2:3], s[50:51]
	v_fma_f64 v[206:207], v[229:230], s[20:21], v[26:27]
	v_add_f64 v[24:25], v[198:199], v[24:25]
	v_mul_f64 v[198:199], v[221:222], s[50:51]
	v_fma_f64 v[208:209], v[202:203], s[20:21], -v[34:35]
	v_add_f64 v[30:31], v[204:205], v[30:31]
	v_fma_f64 v[32:33], v[233:234], s[30:31], -v[32:33]
	v_add_f64 v[12:13], v[18:19], v[12:13]
	v_mul_f64 v[18:19], v[42:43], s[24:25]
	v_fma_f64 v[204:205], v[227:228], s[36:37], v[196:197]
	v_add_f64 v[24:25], v[206:207], v[24:25]
	v_mul_f64 v[206:207], v[243:244], s[24:25]
	v_fma_f64 v[210:211], v[200:201], s[36:37], -v[198:199]
	v_add_f64 v[30:31], v[208:209], v[30:31]
	v_mov_b32_e32 v11, v7
	v_mov_b32_e32 v80, v82
	;; [unrolled: 1-line block ×19, first 2 shown]
	v_fma_f64 v[26:27], v[229:230], s[20:21], -v[26:27]
	v_add_f64 v[12:13], v[32:33], v[12:13]
	v_mul_f64 v[32:33], v[2:3], s[56:57]
	v_fma_f64 v[208:209], v[225:226], s[10:11], v[18:19]
	v_add_f64 v[24:25], v[204:205], v[24:25]
	v_mul_f64 v[204:205], v[212:213], s[56:57]
	v_fma_f64 v[214:215], v[194:195], s[10:11], -v[206:207]
	v_add_f64 v[30:31], v[210:211], v[30:31]
	v_mov_b32_e32 v93, v95
	v_mov_b32_e32 v94, v96
	;; [unrolled: 1-line block ×29, first 2 shown]
	v_fma_f64 v[196:197], v[227:228], s[36:37], -v[196:197]
	v_add_f64 v[12:13], v[26:27], v[12:13]
	v_mul_f64 v[26:27], v[70:71], s[48:49]
	v_fma_f64 v[210:211], v[223:224], s[16:17], v[32:33]
	v_add_f64 v[24:25], v[208:209], v[24:25]
	v_mul_f64 v[208:209], v[36:37], s[48:49]
	v_fma_f64 v[219:220], v[192:193], s[16:17], -v[204:205]
	v_add_f64 v[30:31], v[214:215], v[30:31]
	v_fma_f64 v[18:19], v[225:226], s[10:11], -v[18:19]
	v_add_f64 v[12:13], v[196:197], v[12:13]
	v_add_f64 v[14:15], v[22:23], v[14:15]
	v_fma_f64 v[22:23], v[217:218], s[22:23], v[26:27]
	v_add_f64 v[24:25], v[210:211], v[24:25]
	v_fma_f64 v[20:21], v[247:248], s[34:35], v[20:21]
	v_fma_f64 v[196:197], v[186:187], s[22:23], -v[208:209]
	v_add_f64 v[30:31], v[219:220], v[30:31]
	v_fma_f64 v[32:33], v[223:224], s[16:17], -v[32:33]
	v_add_f64 v[12:13], v[18:19], v[12:13]
	v_add_f64 v[76:77], v[16:17], v[14:15]
	buffer_store_dword v76, off, s[64:67], 0 offset:416 ; 4-byte Folded Spill
	s_nop 0
	buffer_store_dword v77, off, s[64:67], 0 offset:420 ; 4-byte Folded Spill
	buffer_store_dword v78, off, s[64:67], 0 offset:424 ; 4-byte Folded Spill
	buffer_store_dword v79, off, s[64:67], 0 offset:428 ; 4-byte Folded Spill
	v_add_f64 v[18:19], v[120:121], v[20:21]
	v_add_f64 v[22:23], v[22:23], v[24:25]
	;; [unrolled: 1-line block ×3, first 2 shown]
	buffer_store_dword v20, off, s[64:67], 0 offset:400 ; 4-byte Folded Spill
	s_nop 0
	buffer_store_dword v21, off, s[64:67], 0 offset:404 ; 4-byte Folded Spill
	buffer_store_dword v22, off, s[64:67], 0 offset:408 ; 4-byte Folded Spill
	;; [unrolled: 1-line block ×4, first 2 shown]
	s_nop 0
	buffer_store_dword v53, off, s[64:67], 0 offset:436 ; 4-byte Folded Spill
	buffer_store_dword v10, off, s[64:67], 0 offset:440 ; 4-byte Folded Spill
	s_nop 0
	buffer_store_dword v11, off, s[64:67], 0 offset:444 ; 4-byte Folded Spill
	buffer_store_dword v54, off, s[64:67], 0 offset:448 ; 4-byte Folded Spill
	s_nop 0
	buffer_store_dword v55, off, s[64:67], 0 offset:452 ; 4-byte Folded Spill
	v_fma_f64 v[14:15], v[245:246], s[8:9], v[28:29]
	v_mul_f64 v[16:17], v[188:189], s[50:51]
	v_fma_f64 v[20:21], v[217:218], s[22:23], -v[26:27]
	v_fma_f64 v[22:23], v[0:1], s[30:31], v[182:183]
	v_mul_f64 v[24:25], v[184:185], s[26:27]
	s_mov_b32 s53, 0x3fc7851a
	s_mov_b32 s52, s18
	v_add_f64 v[12:13], v[32:33], v[12:13]
	v_add_f64 v[14:15], v[14:15], v[18:19]
	v_fma_f64 v[26:27], v[235:236], s[36:37], v[16:17]
	v_fma_f64 v[18:19], v[202:203], s[20:21], v[34:35]
	v_mul_f64 v[30:31], v[180:181], s[52:53]
	v_fma_f64 v[32:33], v[231:232], s[16:17], v[24:25]
	v_mov_b32_e32 v9, v5
	v_mov_b32_e32 v8, v4
	v_fma_f64 v[34:35], v[200:201], s[36:37], v[198:199]
	v_add_f64 v[14:15], v[22:23], v[14:15]
	v_add_f64 v[26:27], v[122:123], v[26:27]
	v_fma_f64 v[22:23], v[186:187], s[22:23], v[208:209]
	v_mul_f64 v[198:199], v[8:9], s[54:55]
	v_fma_f64 v[208:209], v[233:234], s[8:9], v[30:31]
	v_mov_b32_e32 v79, v41
	v_mov_b32_e32 v78, v40
	v_mul_f64 v[210:211], v[6:7], s[48:49]
	v_add_f64 v[14:15], v[18:19], v[14:15]
	v_add_f64 v[26:27], v[32:33], v[26:27]
	v_fma_f64 v[18:19], v[194:195], s[10:11], v[206:207]
	v_fma_f64 v[214:215], v[229:230], s[30:31], v[198:199]
	v_mov_b32_e32 v4, v42
	v_mov_b32_e32 v5, v43
	v_mul_f64 v[219:220], v[4:5], s[38:39]
	v_fma_f64 v[16:17], v[235:236], s[36:37], -v[16:17]
	v_add_f64 v[14:15], v[34:35], v[14:15]
	v_add_f64 v[26:27], v[208:209], v[26:27]
	v_fma_f64 v[34:35], v[192:193], s[16:17], v[204:205]
	v_mul_f64 v[204:205], v[78:79], s[54:55]
	v_mul_f64 v[239:240], v[243:244], s[38:39]
	v_fma_f64 v[24:25], v[231:232], s[16:17], -v[24:25]
	v_fma_f64 v[237:238], v[225:226], s[20:21], v[219:220]
	v_add_f64 v[16:17], v[122:123], v[16:17]
	v_add_f64 v[14:15], v[18:19], v[14:15]
	;; [unrolled: 1-line block ×3, first 2 shown]
	v_mul_f64 v[18:19], v[221:222], s[48:49]
	v_fma_f64 v[214:215], v[202:203], s[30:31], -v[204:205]
	v_fma_f64 v[30:31], v[233:234], s[8:9], -v[30:31]
	v_fma_f64 v[249:250], v[229:230], s[30:31], -v[198:199]
	v_add_f64 v[198:199], v[20:21], v[12:13]
	v_add_f64 v[16:17], v[24:25], v[16:17]
	v_fma_f64 v[24:25], v[194:195], s[20:21], -v[239:240]
	v_add_f64 v[14:15], v[34:35], v[14:15]
	v_fma_f64 v[12:13], v[227:228], s[22:23], -v[210:211]
	v_fma_f64 v[204:205], v[202:203], s[30:31], v[204:205]
	v_mov_b32_e32 v69, v37
	v_mov_b32_e32 v77, v3
	;; [unrolled: 1-line block ×3, first 2 shown]
	v_add_f64 v[16:17], v[30:31], v[16:17]
	v_mov_b32_e32 v76, v2
	v_mul_f64 v[36:37], v[4:5], s[54:55]
	v_mul_f64 v[40:41], v[70:71], s[40:41]
	v_add_f64 v[124:125], v[120:121], v[124:125]
	buffer_store_dword v191, off, s[64:67], 0 offset:268 ; 4-byte Folded Spill
	v_add_f64 v[16:17], v[249:250], v[16:17]
	v_mul_f64 v[249:250], v[180:181], s[26:27]
	v_add_f64 v[12:13], v[12:13], v[16:17]
	v_mul_f64 v[28:29], v[52:53], s[50:51]
	v_mul_f64 v[182:183], v[10:11], s[26:27]
	;; [unrolled: 1-line block ×4, first 2 shown]
	v_fma_f64 v[196:197], v[247:248], s[36:37], -v[28:29]
	v_fma_f64 v[206:207], v[245:246], s[16:17], -v[182:183]
	;; [unrolled: 1-line block ×3, first 2 shown]
	v_fma_f64 v[182:183], v[245:246], s[16:17], v[182:183]
	v_add_f64 v[196:197], v[120:121], v[196:197]
	v_add_f64 v[196:197], v[206:207], v[196:197]
	v_fma_f64 v[206:207], v[227:228], s[22:23], v[210:211]
	v_add_f64 v[196:197], v[208:209], v[196:197]
	v_mul_f64 v[208:209], v[2:3], s[42:43]
	v_add_f64 v[26:27], v[206:207], v[26:27]
	v_fma_f64 v[206:207], v[200:201], s[22:23], -v[18:19]
	v_fma_f64 v[18:19], v[200:201], s[22:23], v[18:19]
	v_mul_f64 v[2:3], v[78:79], s[18:19]
	v_add_f64 v[196:197], v[214:215], v[196:197]
	v_mul_f64 v[214:215], v[70:71], s[24:25]
	v_fma_f64 v[241:242], v[223:224], s[34:35], v[208:209]
	v_add_f64 v[26:27], v[237:238], v[26:27]
	v_mul_f64 v[237:238], v[212:213], s[42:43]
	v_fma_f64 v[16:17], v[223:224], s[34:35], -v[208:209]
	v_add_f64 v[196:197], v[206:207], v[196:197]
	v_fma_f64 v[34:35], v[217:218], s[10:11], v[214:215]
	v_add_f64 v[26:27], v[241:242], v[26:27]
	v_fma_f64 v[30:31], v[192:193], s[34:35], -v[237:238]
	v_mul_f64 v[241:242], v[68:69], s[24:25]
	v_add_f64 v[24:25], v[24:25], v[196:197]
	v_add_f64 v[196:197], v[22:23], v[14:15]
	v_mul_f64 v[14:15], v[188:189], s[46:47]
	v_add_f64 v[206:207], v[34:35], v[26:27]
	v_fma_f64 v[26:27], v[247:248], s[36:37], v[28:29]
	v_fma_f64 v[28:29], v[225:226], s[20:21], -v[219:220]
	v_mul_f64 v[219:220], v[52:53], s[46:47]
	v_fma_f64 v[20:21], v[186:187], s[10:11], -v[241:242]
	v_add_f64 v[22:23], v[30:31], v[24:25]
	v_mul_f64 v[30:31], v[184:185], s[42:43]
	v_fma_f64 v[34:35], v[235:236], s[22:23], v[14:15]
	v_fma_f64 v[24:25], v[217:218], s[10:11], -v[214:215]
	v_add_f64 v[26:27], v[120:121], v[26:27]
	v_add_f64 v[12:13], v[28:29], v[12:13]
	v_fma_f64 v[28:29], v[0:1], s[8:9], v[32:33]
	v_mul_f64 v[32:33], v[10:11], s[42:43]
	v_fma_f64 v[210:211], v[247:248], s[22:23], -v[219:220]
	v_fma_f64 v[208:209], v[231:232], s[34:35], v[30:31]
	v_add_f64 v[34:35], v[122:123], v[34:35]
	v_fma_f64 v[214:215], v[233:234], s[16:17], v[249:250]
	v_add_f64 v[26:27], v[182:183], v[26:27]
	v_mul_f64 v[182:183], v[8:9], s[18:19]
	v_add_f64 v[12:13], v[16:17], v[12:13]
	v_fma_f64 v[14:15], v[235:236], s[22:23], -v[14:15]
	v_add_f64 v[210:211], v[120:121], v[210:211]
	v_mul_f64 v[16:17], v[212:213], s[44:45]
	v_add_f64 v[34:35], v[208:209], v[34:35]
	v_fma_f64 v[208:209], v[245:246], s[34:35], -v[32:33]
	v_add_f64 v[26:27], v[28:29], v[26:27]
	v_mul_f64 v[28:29], v[6:7], s[58:59]
	v_fma_f64 v[253:254], v[229:230], s[8:9], v[182:183]
	v_add_f64 v[14:15], v[122:123], v[14:15]
	v_fma_f64 v[32:33], v[245:246], s[34:35], v[32:33]
	v_mov_b32_e32 v55, v47
	v_add_f64 v[34:35], v[214:215], v[34:35]
	v_fma_f64 v[214:215], v[0:1], s[16:17], -v[251:252]
	v_add_f64 v[208:209], v[208:209], v[210:211]
	v_add_f64 v[26:27], v[204:205], v[26:27]
	v_fma_f64 v[38:39], v[227:228], s[10:11], v[28:29]
	v_fma_f64 v[204:205], v[194:195], s[20:21], v[239:240]
	v_mul_f64 v[239:240], v[221:222], s[58:59]
	v_fma_f64 v[210:211], v[202:203], s[8:9], -v[2:3]
	v_add_f64 v[34:35], v[253:254], v[34:35]
	v_fma_f64 v[28:29], v[227:228], s[10:11], -v[28:29]
	v_add_f64 v[208:209], v[214:215], v[208:209]
	v_add_f64 v[18:19], v[18:19], v[26:27]
	v_mul_f64 v[26:27], v[76:77], s[44:45]
	v_fma_f64 v[214:215], v[225:226], s[30:31], v[36:37]
	v_fma_f64 v[253:254], v[200:201], s[10:11], -v[239:240]
	v_fma_f64 v[2:3], v[202:203], s[8:9], v[2:3]
	v_add_f64 v[34:35], v[38:39], v[34:35]
	v_fma_f64 v[38:39], v[192:193], s[34:35], v[237:238]
	v_mul_f64 v[237:238], v[243:244], s[54:55]
	v_add_f64 v[208:209], v[210:211], v[208:209]
	v_add_f64 v[18:19], v[204:205], v[18:19]
	v_fma_f64 v[42:43], v[223:224], s[36:37], v[26:27]
	v_add_f64 v[210:211], v[24:25], v[12:13]
	v_fma_f64 v[12:13], v[231:232], s[34:35], -v[30:31]
	v_add_f64 v[34:35], v[214:215], v[34:35]
	v_fma_f64 v[214:215], v[186:187], s[10:11], v[241:242]
	v_fma_f64 v[204:205], v[194:195], s[30:31], -v[237:238]
	v_add_f64 v[208:209], v[253:254], v[208:209]
	v_add_f64 v[18:19], v[38:39], v[18:19]
	v_fma_f64 v[38:39], v[217:218], s[20:21], v[40:41]
	v_fma_f64 v[24:25], v[247:248], s[22:23], v[219:220]
	v_fma_f64 v[30:31], v[233:234], s[16:17], -v[249:250]
	v_add_f64 v[34:35], v[42:43], v[34:35]
	v_add_f64 v[12:13], v[12:13], v[14:15]
	v_fma_f64 v[14:15], v[225:226], s[30:31], -v[36:37]
	v_add_f64 v[253:254], v[204:205], v[208:209]
	v_add_f64 v[208:209], v[214:215], v[18:19]
	;; [unrolled: 3-line block ×3, first 2 shown]
	v_add_f64 v[214:215], v[38:39], v[34:35]
	v_mul_f64 v[34:35], v[188:189], s[38:39]
	v_mul_f64 v[38:39], v[184:185], s[46:47]
	v_add_f64 v[12:13], v[30:31], v[12:13]
	v_fma_f64 v[30:31], v[0:1], s[16:17], v[251:252]
	v_fma_f64 v[22:23], v[217:218], s[20:21], -v[40:41]
	v_add_f64 v[24:25], v[32:33], v[24:25]
	v_add_f64 v[40:41], v[122:123], v[126:127]
	v_mul_f64 v[32:33], v[180:181], s[50:51]
	v_fma_f64 v[10:11], v[235:236], s[20:21], v[34:35]
	v_fma_f64 v[126:127], v[231:232], s[22:23], v[38:39]
	v_add_f64 v[12:13], v[36:37], v[12:13]
	v_fma_f64 v[26:27], v[223:224], s[36:37], -v[26:27]
	v_mul_f64 v[42:43], v[68:69], s[40:41]
	v_add_f64 v[24:25], v[30:31], v[24:25]
	v_add_f64 v[36:37], v[40:41], v[130:131]
	;; [unrolled: 1-line block ×4, first 2 shown]
	v_mul_f64 v[30:31], v[8:9], s[42:43]
	v_fma_f64 v[124:125], v[233:234], s[36:37], v[32:33]
	v_add_f64 v[12:13], v[28:29], v[12:13]
	v_fma_f64 v[28:29], v[200:201], s[10:11], v[239:240]
	v_add_f64 v[2:3], v[2:3], v[24:25]
	v_mul_f64 v[24:25], v[6:7], s[28:29]
	v_fma_f64 v[241:242], v[192:193], s[36:37], -v[16:17]
	v_add_f64 v[10:11], v[126:127], v[10:11]
	v_fma_f64 v[126:127], v[229:230], s[34:35], v[30:31]
	v_fma_f64 v[16:17], v[192:193], s[36:37], v[16:17]
	v_add_f64 v[12:13], v[14:15], v[12:13]
	v_fma_f64 v[14:15], v[194:195], s[30:31], v[237:238]
	v_add_f64 v[2:3], v[28:29], v[2:3]
	v_mov_b32_e32 v54, v46
	v_mov_b32_e32 v53, v45
	v_add_f64 v[10:11], v[124:125], v[10:11]
	v_fma_f64 v[124:125], v[227:228], s[30:31], v[24:25]
	v_mov_b32_e32 v52, v44
	v_add_f64 v[12:13], v[26:27], v[12:13]
	v_fma_f64 v[18:19], v[186:187], s[20:21], -v[42:43]
	v_add_f64 v[2:3], v[14:15], v[2:3]
	buffer_load_dword v182, off, s[64:67], 0 offset:244 ; 4-byte Folded Reload
	v_mul_f64 v[28:29], v[4:5], s[26:27]
	v_add_f64 v[10:11], v[126:127], v[10:11]
	v_add_f64 v[36:37], v[36:37], v[134:135]
	;; [unrolled: 1-line block ×3, first 2 shown]
	v_fma_f64 v[34:35], v[235:236], s[20:21], -v[34:35]
	v_fma_f64 v[38:39], v[231:232], s[22:23], -v[38:39]
	v_add_f64 v[16:17], v[16:17], v[2:3]
	v_mul_f64 v[2:3], v[70:71], s[18:19]
	v_fma_f64 v[32:33], v[233:234], s[36:37], -v[32:33]
	v_add_f64 v[124:125], v[124:125], v[10:11]
	v_add_f64 v[10:11], v[22:23], v[12:13]
	v_fma_f64 v[12:13], v[186:187], s[20:21], v[42:43]
	v_mul_f64 v[42:43], v[68:69], s[18:19]
	buffer_load_dword v68, off, s[64:67], 0 offset:336 ; 4-byte Folded Reload
	buffer_load_dword v69, off, s[64:67], 0 offset:340 ; 4-byte Folded Reload
	;; [unrolled: 1-line block ×10, first 2 shown]
	v_add_f64 v[36:37], v[36:37], v[138:139]
	v_add_f64 v[40:41], v[40:41], v[136:137]
	;; [unrolled: 1-line block ×3, first 2 shown]
	v_mul_f64 v[8:9], v[221:222], s[28:29]
	v_fma_f64 v[30:31], v[229:230], s[34:35], -v[30:31]
	v_mul_f64 v[6:7], v[243:244], s[26:27]
	v_fma_f64 v[24:25], v[227:228], s[30:31], -v[24:25]
	v_mul_f64 v[14:15], v[76:77], s[24:25]
	v_add_f64 v[26:27], v[36:37], v[142:143]
	v_add_f64 v[36:37], v[40:41], v[140:141]
	;; [unrolled: 1-line block ×3, first 2 shown]
	v_fma_f64 v[40:41], v[225:226], s[16:17], v[28:29]
	v_add_f64 v[20:21], v[241:242], v[253:254]
	v_add_f64 v[22:23], v[26:27], v[146:147]
	v_add_f64 v[26:27], v[36:37], v[144:145]
	v_add_f64 v[32:33], v[32:33], v[34:35]
	v_fma_f64 v[36:37], v[223:224], s[10:11], v[14:15]
	v_add_f64 v[40:41], v[40:41], v[124:125]
	v_mul_f64 v[124:125], v[212:213], s[24:25]
	v_add_f64 v[212:213], v[18:19], v[20:21]
	v_add_f64 v[22:23], v[22:23], v[150:151]
	;; [unrolled: 1-line block ×4, first 2 shown]
	v_fma_f64 v[32:33], v[200:201], s[30:31], v[8:9]
	v_fma_f64 v[8:9], v[200:201], s[30:31], -v[8:9]
	v_add_f64 v[22:23], v[22:23], v[154:155]
	v_add_f64 v[26:27], v[26:27], v[152:153]
	;; [unrolled: 1-line block ×13, first 2 shown]
	s_waitcnt vmcnt(2)
	v_mul_f64 v[126:127], v[4:5], s[38:39]
	s_waitcnt vmcnt(0)
	v_mul_f64 v[128:129], v[44:45], s[46:47]
	buffer_load_dword v44, off, s[64:67], 0 offset:448 ; 4-byte Folded Reload
	buffer_load_dword v45, off, s[64:67], 0 offset:452 ; 4-byte Folded Reload
	v_mul_f64 v[4:5], v[78:79], s[42:43]
	v_add_f64 v[22:23], v[22:23], v[178:179]
	v_fma_f64 v[130:131], v[247:248], s[20:21], v[126:127]
	v_fma_f64 v[126:127], v[247:248], s[20:21], -v[126:127]
	v_fma_f64 v[122:123], v[245:246], s[22:23], v[128:129]
	v_fma_f64 v[128:129], v[245:246], s[22:23], -v[128:129]
	;; [unrolled: 2-line block ×3, first 2 shown]
	buffer_load_dword v245, off, s[64:67], 0 offset:224 ; 4-byte Folded Reload
	buffer_load_dword v246, off, s[64:67], 0 offset:228 ; 4-byte Folded Reload
	;; [unrolled: 1-line block ×4, first 2 shown]
	buffer_load_dword v201, off, s[64:67], 0 ; 4-byte Folded Reload
	v_add_f64 v[130:131], v[120:121], v[130:131]
	v_add_f64 v[120:121], v[120:121], v[126:127]
	;; [unrolled: 1-line block ×4, first 2 shown]
	s_waitcnt vmcnt(5)
	v_mul_f64 v[132:133], v[44:45], s[50:51]
	v_mov_b32_e32 v44, v52
	v_mov_b32_e32 v45, v53
	v_mov_b32_e32 v46, v54
	v_mov_b32_e32 v47, v55
	v_fma_f64 v[38:39], v[0:1], s[36:37], v[132:133]
	v_fma_f64 v[0:1], v[0:1], s[36:37], -v[132:133]
	s_waitcnt vmcnt(0)
	v_lshlrev_b32_e32 v200, 4, v201
	v_add_f64 v[38:39], v[38:39], v[122:123]
	v_add_f64 v[0:1], v[0:1], v[120:121]
	;; [unrolled: 1-line block ×4, first 2 shown]
	v_fma_f64 v[4:5], v[225:226], s[16:17], -v[28:29]
	v_fma_f64 v[28:29], v[194:195], s[16:17], v[6:7]
	buffer_load_dword v225, off, s[64:67], 0 offset:204 ; 4-byte Folded Reload
	buffer_load_dword v226, off, s[64:67], 0 offset:208 ; 4-byte Folded Reload
	;; [unrolled: 1-line block ×4, first 2 shown]
	v_fma_f64 v[6:7], v[194:195], s[16:17], -v[6:7]
	v_add_f64 v[30:31], v[32:33], v[34:35]
	v_add_f64 v[0:1], v[8:9], v[0:1]
	v_fma_f64 v[8:9], v[223:224], s[10:11], -v[14:15]
	buffer_load_dword v221, off, s[64:67], 0 offset:188 ; 4-byte Folded Reload
	buffer_load_dword v222, off, s[64:67], 0 offset:192 ; 4-byte Folded Reload
	;; [unrolled: 1-line block ×4, first 2 shown]
	v_add_f64 v[4:5], v[4:5], v[24:25]
	v_add_f64 v[24:25], v[26:27], v[176:177]
	v_fma_f64 v[14:15], v[192:193], s[10:11], v[124:125]
	v_add_f64 v[26:27], v[28:29], v[30:31]
	buffer_load_dword v30, off, s[64:67], 0 offset:8 ; 4-byte Folded Reload
	buffer_load_dword v31, off, s[64:67], 0 offset:12 ; 4-byte Folded Reload
	;; [unrolled: 1-line block ×4, first 2 shown]
	v_add_f64 v[0:1], v[6:7], v[0:1]
	v_fma_f64 v[6:7], v[217:218], s[8:9], -v[2:3]
	v_add_f64 v[4:5], v[8:9], v[4:5]
	v_fma_f64 v[8:9], v[186:187], s[8:9], v[42:43]
	v_fma_f64 v[28:29], v[192:193], s[10:11], -v[124:125]
	v_add_f64 v[14:15], v[14:15], v[26:27]
	v_fma_f64 v[26:27], v[217:218], s[8:9], v[2:3]
	buffer_load_dword v217, off, s[64:67], 0 offset:156 ; 4-byte Folded Reload
	buffer_load_dword v218, off, s[64:67], 0 offset:160 ; 4-byte Folded Reload
	;; [unrolled: 1-line block ×4, first 2 shown]
	v_add_f64 v[2:3], v[6:7], v[4:5]
	v_add_f64 v[28:29], v[28:29], v[0:1]
	v_add_f64 v[0:1], v[8:9], v[14:15]
	v_add_f64 v[8:9], v[12:13], v[16:17]
	v_mul_lo_u16_e32 v12, 17, v201
	s_waitcnt vmcnt(4)
	v_add_f64 v[22:23], v[22:23], v[32:33]
	v_add_f64 v[24:25], v[24:25], v[30:31]
	;; [unrolled: 1-line block ×3, first 2 shown]
	buffer_load_dword v34, off, s[64:67], 0 offset:76 ; 4-byte Folded Reload
	buffer_load_dword v35, off, s[64:67], 0 offset:80 ; 4-byte Folded Reload
	;; [unrolled: 1-line block ×4, first 2 shown]
	v_fma_f64 v[32:33], v[186:187], s[8:9], -v[42:43]
	buffer_load_dword v186, off, s[64:67], 0 offset:232 ; 4-byte Folded Reload
	buffer_load_dword v52, off, s[64:67], 0 offset:272 ; 4-byte Folded Reload
	;; [unrolled: 1-line block ×10, first 2 shown]
	v_add_f64 v[122:123], v[26:27], v[30:31]
	v_add_f64 v[120:121], v[32:33], v[28:29]
	s_waitcnt vmcnt(2)
	v_add_f64 v[4:5], v[24:25], v[4:5]
	buffer_load_dword v24, off, s[64:67], 0 offset:92 ; 4-byte Folded Reload
	buffer_load_dword v25, off, s[64:67], 0 offset:96 ; 4-byte Folded Reload
	;; [unrolled: 1-line block ×9, first 2 shown]
	s_waitcnt vmcnt(9)
	v_add_f64 v[6:7], v[22:23], v[6:7]
	s_waitcnt vmcnt(0)
	v_lshl_add_u32 v12, v12, 4, v13
	ds_write_b128 v12, v[4:7]
	ds_write_b128 v12, v[0:3] offset:16
	ds_write_b128 v12, v[8:11] offset:32
	;; [unrolled: 1-line block ×3, first 2 shown]
	buffer_load_dword v208, off, s[64:67], 0 offset:124 ; 4-byte Folded Reload
	buffer_load_dword v209, off, s[64:67], 0 offset:128 ; 4-byte Folded Reload
	;; [unrolled: 1-line block ×4, first 2 shown]
	ds_write_b128 v12, v[196:199] offset:64
	buffer_load_dword v0, off, s[64:67], 0 offset:416 ; 4-byte Folded Reload
	buffer_load_dword v1, off, s[64:67], 0 offset:420 ; 4-byte Folded Reload
	buffer_load_dword v2, off, s[64:67], 0 offset:424 ; 4-byte Folded Reload
	buffer_load_dword v3, off, s[64:67], 0 offset:428 ; 4-byte Folded Reload
	s_waitcnt vmcnt(0)
	ds_write_b128 v12, v[0:3] offset:80
	buffer_load_dword v0, off, s[64:67], 0 offset:384 ; 4-byte Folded Reload
	buffer_load_dword v1, off, s[64:67], 0 offset:388 ; 4-byte Folded Reload
	buffer_load_dword v2, off, s[64:67], 0 offset:392 ; 4-byte Folded Reload
	buffer_load_dword v3, off, s[64:67], 0 offset:396 ; 4-byte Folded Reload
	s_waitcnt vmcnt(0)
	;; [unrolled: 6-line block ×9, first 2 shown]
	ds_write_b128 v12, v[0:3] offset:208
	ds_write_b128 v12, v[204:207] offset:224
	buffer_load_dword v204, off, s[64:67], 0 offset:108 ; 4-byte Folded Reload
	buffer_load_dword v205, off, s[64:67], 0 offset:112 ; 4-byte Folded Reload
	;; [unrolled: 1-line block ×4, first 2 shown]
	ds_write_b128 v12, v[212:215] offset:240
	buffer_load_dword v212, off, s[64:67], 0 offset:140 ; 4-byte Folded Reload
	buffer_load_dword v213, off, s[64:67], 0 offset:144 ; 4-byte Folded Reload
	;; [unrolled: 1-line block ×4, first 2 shown]
	ds_write_b128 v12, v[120:123] offset:256
.LBB0_13:
	s_or_b64 exec, exec, s[2:3]
	s_waitcnt vmcnt(0) lgkmcnt(0)
	s_barrier
	ds_read_b128 v[0:3], v190 offset:4080
	ds_read_b128 v[4:7], v190
	ds_read_b128 v[8:11], v190 offset:816
	ds_read_b128 v[120:123], v190 offset:8160
	;; [unrolled: 1-line block ×13, first 2 shown]
	buffer_load_dword v40, off, s[64:67], 0 offset:60 ; 4-byte Folded Reload
	buffer_load_dword v41, off, s[64:67], 0 offset:64 ; 4-byte Folded Reload
	;; [unrolled: 1-line block ×4, first 2 shown]
	s_waitcnt lgkmcnt(14)
	v_mul_f64 v[12:13], v[223:224], v[2:3]
	v_mul_f64 v[14:15], v[223:224], v[0:1]
	s_waitcnt lgkmcnt(11)
	v_mul_f64 v[16:17], v[30:31], v[122:123]
	v_mul_f64 v[18:19], v[30:31], v[120:121]
	;; [unrolled: 3-line block ×4, first 2 shown]
	v_fma_f64 v[12:13], v[221:222], v[0:1], v[12:13]
	v_mul_f64 v[0:1], v[36:37], v[126:127]
	v_fma_f64 v[2:3], v[221:222], v[2:3], -v[14:15]
	v_fma_f64 v[14:15], v[28:29], v[120:121], v[16:17]
	v_fma_f64 v[16:17], v[28:29], v[122:123], -v[18:19]
	v_fma_f64 v[18:19], v[24:25], v[128:129], v[20:21]
	v_mul_f64 v[20:21], v[36:37], v[124:125]
	v_mul_f64 v[36:37], v[206:207], v[150:151]
	v_fma_f64 v[22:23], v[24:25], v[130:131], -v[22:23]
	v_fma_f64 v[28:29], v[34:35], v[124:125], v[0:1]
	v_mul_f64 v[24:25], v[46:47], v[134:135]
	s_mov_b32 s2, 0xe8584caa
	s_mov_b32 s3, 0xbfebb67a
	;; [unrolled: 1-line block ×3, first 2 shown]
	v_fma_f64 v[34:35], v[34:35], v[126:127], -v[20:21]
	v_mul_f64 v[20:21], v[210:211], v[156:157]
	v_fma_f64 v[120:121], v[204:205], v[148:149], v[36:37]
	s_waitcnt lgkmcnt(1)
	v_mul_f64 v[36:37], v[214:215], v[160:161]
	s_mov_b32 s8, s2
	s_waitcnt vmcnt(0) lgkmcnt(0)
	s_barrier
	v_fma_f64 v[24:25], v[44:45], v[132:133], v[24:25]
	v_fma_f64 v[46:47], v[208:209], v[158:159], -v[20:21]
	v_mul_f64 v[20:21], v[214:215], v[162:163]
	v_fma_f64 v[126:127], v[212:213], v[162:163], -v[36:37]
	v_add_f64 v[36:37], v[2:3], v[16:17]
	v_fma_f64 v[26:27], v[44:45], v[134:135], -v[26:27]
	v_mul_f64 v[44:45], v[219:220], v[164:165]
	s_mov_b32 s10, 0x134454ff
	s_mov_b32 s11, 0xbfee6f0e
	;; [unrolled: 1-line block ×3, first 2 shown]
	v_fma_f64 v[124:125], v[212:213], v[160:161], v[20:21]
	s_mov_b32 s17, 0xbfe2cf23
	v_fma_f64 v[36:37], v[36:37], -0.5, v[6:7]
	s_mov_b32 s19, 0x3fee6f0e
	v_fma_f64 v[130:131], v[217:218], v[166:167], -v[44:45]
	s_mov_b32 s18, s10
	s_mov_b32 s21, 0x3fe2cf23
	s_mov_b32 s20, s16
	s_mov_b32 s22, 0x372fe950
	s_mov_b32 s23, 0x3fd3c6ef
	v_mul_f64 v[0:1], v[42:43], v[146:147]
	v_mul_f64 v[30:31], v[42:43], v[144:145]
	v_fma_f64 v[42:43], v[208:209], v[156:157], v[32:33]
	v_add_f64 v[32:33], v[12:13], v[14:15]
	v_fma_f64 v[38:39], v[40:41], v[144:145], v[0:1]
	v_mul_f64 v[0:1], v[206:207], v[148:149]
	v_fma_f64 v[30:31], v[40:41], v[146:147], -v[30:31]
	v_fma_f64 v[20:21], v[32:33], -0.5, v[4:5]
	v_add_f64 v[32:33], v[2:3], -v[16:17]
	v_add_f64 v[2:3], v[6:7], v[2:3]
	v_mul_f64 v[40:41], v[219:220], v[166:167]
	v_add_f64 v[132:133], v[42:43], v[120:121]
	v_add_f64 v[134:135], v[24:25], -v[38:39]
	v_fma_f64 v[122:123], v[204:205], v[150:151], -v[0:1]
	v_add_f64 v[0:1], v[4:5], v[12:13]
	v_fma_f64 v[4:5], v[32:33], s[2:3], v[20:21]
	v_add_f64 v[2:3], v[2:3], v[16:17]
	v_fma_f64 v[128:129], v[217:218], v[164:165], v[40:41]
	v_add_f64 v[40:41], v[18:19], v[28:29]
	v_add_f64 v[16:17], v[22:23], v[34:35]
	v_fma_f64 v[132:133], v[132:133], -0.5, v[140:141]
	v_add_f64 v[0:1], v[0:1], v[14:15]
	v_add_f64 v[14:15], v[12:13], -v[14:15]
	v_fma_f64 v[12:13], v[32:33], s[8:9], v[20:21]
	v_add_f64 v[20:21], v[8:9], v[18:19]
	v_fma_f64 v[32:33], v[40:41], -0.5, v[8:9]
	v_add_f64 v[40:41], v[22:23], -v[34:35]
	v_add_f64 v[22:23], v[10:11], v[22:23]
	v_fma_f64 v[44:45], v[16:17], -0.5, v[10:11]
	v_fma_f64 v[6:7], v[14:15], s[8:9], v[36:37]
	v_fma_f64 v[14:15], v[14:15], s[2:3], v[36:37]
	ds_write_b128 v229, v[0:3]
	ds_write_b128 v229, v[4:7] offset:272
	ds_write_b128 v229, v[12:15] offset:544
	buffer_load_dword v0, off, s[64:67], 0 offset:40 ; 4-byte Folded Reload
	v_add_f64 v[8:9], v[20:21], v[28:29]
	v_add_f64 v[28:29], v[18:19], -v[28:29]
	v_add_f64 v[10:11], v[22:23], v[34:35]
	v_fma_f64 v[16:17], v[40:41], s[2:3], v[32:33]
	v_fma_f64 v[20:21], v[40:41], s[8:9], v[32:33]
	v_add_f64 v[36:37], v[24:25], v[38:39]
	v_add_f64 v[32:33], v[26:27], v[30:31]
	;; [unrolled: 1-line block ×3, first 2 shown]
	v_add_f64 v[40:41], v[26:27], -v[30:31]
	v_fma_f64 v[18:19], v[28:29], s[8:9], v[44:45]
	v_fma_f64 v[22:23], v[28:29], s[2:3], v[44:45]
	v_add_f64 v[26:27], v[138:139], v[26:27]
	s_waitcnt vmcnt(0)
	ds_write_b128 v0, v[8:11]
	ds_write_b128 v0, v[16:19] offset:272
	ds_write_b128 v0, v[20:23] offset:544
	buffer_load_dword v0, off, s[64:67], 0 offset:44 ; 4-byte Folded Reload
	v_fma_f64 v[36:37], v[36:37], -0.5, v[136:137]
	v_fma_f64 v[44:45], v[32:33], -0.5, v[138:139]
	v_add_f64 v[24:25], v[34:35], v[38:39]
	v_add_f64 v[26:27], v[26:27], v[30:31]
	;; [unrolled: 1-line block ×3, first 2 shown]
	v_add_f64 v[136:137], v[46:47], -v[122:123]
	v_add_f64 v[138:139], v[46:47], v[122:123]
	v_add_f64 v[46:47], v[142:143], v[46:47]
	v_fma_f64 v[28:29], v[40:41], s[2:3], v[36:37]
	v_fma_f64 v[30:31], v[134:135], s[8:9], v[44:45]
	;; [unrolled: 1-line block ×4, first 2 shown]
	v_add_f64 v[36:37], v[38:39], v[120:121]
	v_add_f64 v[38:39], v[124:125], v[128:129]
	v_fma_f64 v[40:41], v[136:137], s[2:3], v[132:133]
	v_fma_f64 v[44:45], v[136:137], s[8:9], v[132:133]
	v_add_f64 v[132:133], v[126:127], v[130:131]
	v_fma_f64 v[134:135], v[138:139], -0.5, v[142:143]
	v_add_f64 v[120:121], v[42:43], -v[120:121]
	v_add_f64 v[136:137], v[152:153], v[124:125]
	v_add_f64 v[140:141], v[126:127], -v[130:131]
	v_add_f64 v[126:127], v[154:155], v[126:127]
	v_fma_f64 v[138:139], v[38:39], -0.5, v[152:153]
	v_add_f64 v[142:143], v[124:125], -v[128:129]
	v_fma_f64 v[132:133], v[132:133], -0.5, v[154:155]
	v_add_f64 v[38:39], v[46:47], v[122:123]
	v_fma_f64 v[42:43], v[120:121], s[8:9], v[134:135]
	v_fma_f64 v[46:47], v[120:121], s[2:3], v[134:135]
	v_add_f64 v[120:121], v[136:137], v[128:129]
	v_add_f64 v[122:123], v[126:127], v[130:131]
	v_fma_f64 v[124:125], v[140:141], s[2:3], v[138:139]
	v_fma_f64 v[128:129], v[140:141], s[8:9], v[138:139]
	;; [unrolled: 1-line block ×4, first 2 shown]
	s_waitcnt vmcnt(0)
	ds_write_b128 v0, v[24:27]
	ds_write_b128 v0, v[28:31] offset:272
	ds_write_b128 v0, v[32:35] offset:544
	buffer_load_dword v0, off, s[64:67], 0 offset:52 ; 4-byte Folded Reload
	s_waitcnt vmcnt(0)
	ds_write_b128 v0, v[36:39]
	ds_write_b128 v0, v[40:43] offset:272
	ds_write_b128 v0, v[44:47] offset:544
	ds_write_b128 v216, v[120:123]
	ds_write_b128 v216, v[124:127] offset:272
	ds_write_b128 v216, v[128:131] offset:544
	s_waitcnt lgkmcnt(0)
	s_barrier
	ds_read_b128 v[0:3], v190
	ds_read_b128 v[4:7], v190 offset:816
	ds_read_b128 v[8:11], v190 offset:4896
	;; [unrolled: 1-line block ×11, first 2 shown]
	s_waitcnt lgkmcnt(5)
	v_mul_f64 v[132:133], v[66:67], v[26:27]
	v_mul_f64 v[134:135], v[66:67], v[24:25]
	;; [unrolled: 1-line block ×4, first 2 shown]
	s_waitcnt lgkmcnt(1)
	v_mul_f64 v[140:141], v[58:59], v[42:43]
	v_mul_f64 v[142:143], v[58:59], v[40:41]
	ds_read_b128 v[120:123], v190 offset:8160
	ds_read_b128 v[124:127], v190 offset:8976
	;; [unrolled: 1-line block ×3, first 2 shown]
	v_mul_f64 v[144:145], v[50:51], v[16:17]
	v_fma_f64 v[24:25], v[64:65], v[24:25], v[132:133]
	v_mul_f64 v[132:133], v[50:51], v[18:19]
	v_fma_f64 v[26:27], v[64:65], v[26:27], -v[134:135]
	v_fma_f64 v[134:135], v[60:61], v[8:9], v[136:137]
	v_mul_f64 v[8:9], v[66:67], v[34:35]
	v_fma_f64 v[136:137], v[60:61], v[10:11], -v[138:139]
	v_fma_f64 v[10:11], v[56:57], v[40:41], v[140:141]
	v_fma_f64 v[40:41], v[56:57], v[42:43], -v[142:143]
	v_mul_f64 v[42:43], v[66:67], v[32:33]
	v_fma_f64 v[16:17], v[48:49], v[16:17], v[132:133]
	v_mul_f64 v[66:67], v[62:63], v[14:15]
	v_mul_f64 v[62:63], v[62:63], v[12:13]
	s_waitcnt lgkmcnt(2)
	v_mul_f64 v[132:133], v[58:59], v[122:123]
	v_mul_f64 v[58:59], v[58:59], v[120:121]
	v_fma_f64 v[32:33], v[64:65], v[32:33], v[8:9]
	v_mul_f64 v[8:9], v[50:51], v[22:23]
	v_mul_f64 v[50:51], v[50:51], v[20:21]
	v_fma_f64 v[18:19], v[48:49], v[18:19], -v[144:145]
	v_fma_f64 v[34:35], v[64:65], v[34:35], -v[42:43]
	v_fma_f64 v[42:43], v[60:61], v[12:13], v[66:67]
	v_fma_f64 v[60:61], v[60:61], v[14:15], -v[62:63]
	v_fma_f64 v[62:63], v[56:57], v[120:121], v[132:133]
	v_fma_f64 v[56:57], v[56:57], v[122:123], -v[58:59]
	v_mul_f64 v[12:13], v[70:71], v[38:39]
	v_fma_f64 v[58:59], v[48:49], v[20:21], v[8:9]
	v_fma_f64 v[48:49], v[48:49], v[22:23], -v[50:51]
	v_mul_f64 v[8:9], v[70:71], v[36:37]
	v_mul_f64 v[14:15], v[74:75], v[46:47]
	v_add_f64 v[20:21], v[0:1], v[24:25]
	v_add_f64 v[50:51], v[134:135], v[10:11]
	v_mul_f64 v[22:23], v[74:75], v[44:45]
	v_fma_f64 v[64:65], v[68:69], v[36:37], v[12:13]
	s_waitcnt lgkmcnt(1)
	v_mul_f64 v[12:13], v[54:55], v[126:127]
	v_mul_f64 v[36:37], v[54:55], v[124:125]
	v_fma_f64 v[66:67], v[68:69], v[38:39], -v[8:9]
	v_fma_f64 v[70:71], v[72:73], v[44:45], v[14:15]
	v_add_f64 v[8:9], v[20:21], v[134:135]
	v_fma_f64 v[14:15], v[50:51], -0.5, v[0:1]
	v_add_f64 v[20:21], v[26:27], -v[18:19]
	v_add_f64 v[38:39], v[136:137], -v[40:41]
	v_fma_f64 v[50:51], v[52:53], v[124:125], v[12:13]
	v_fma_f64 v[68:69], v[52:53], v[126:127], -v[36:37]
	s_waitcnt lgkmcnt(0)
	v_mul_f64 v[12:13], v[227:228], v[130:131]
	v_add_f64 v[44:45], v[24:25], v[16:17]
	v_fma_f64 v[46:47], v[72:73], v[46:47], -v[22:23]
	v_mul_f64 v[22:23], v[227:228], v[128:129]
	v_fma_f64 v[36:37], v[20:21], s[10:11], v[14:15]
	v_add_f64 v[54:55], v[24:25], -v[134:135]
	v_add_f64 v[72:73], v[16:17], -v[10:11]
	v_add_f64 v[8:9], v[8:9], v[10:11]
	v_fma_f64 v[74:75], v[225:226], v[128:129], v[12:13]
	v_fma_f64 v[0:1], v[44:45], -0.5, v[0:1]
	v_add_f64 v[44:45], v[136:137], v[40:41]
	v_fma_f64 v[76:77], v[225:226], v[130:131], -v[22:23]
	v_fma_f64 v[12:13], v[38:39], s[16:17], v[36:37]
	v_add_f64 v[36:37], v[2:3], v[26:27]
	v_add_f64 v[22:23], v[54:55], v[72:73]
	v_fma_f64 v[14:15], v[20:21], s[18:19], v[14:15]
	v_add_f64 v[54:55], v[134:135], -v[24:25]
	v_fma_f64 v[52:53], v[38:39], s[18:19], v[0:1]
	v_add_f64 v[72:73], v[10:11], -v[16:17]
	v_fma_f64 v[0:1], v[38:39], s[10:11], v[0:1]
	v_add_f64 v[8:9], v[8:9], v[16:17]
	v_add_f64 v[36:37], v[36:37], v[136:137]
	v_fma_f64 v[44:45], v[44:45], -0.5, v[2:3]
	v_add_f64 v[24:25], v[24:25], -v[16:17]
	v_fma_f64 v[14:15], v[38:39], s[20:21], v[14:15]
	v_fma_f64 v[16:17], v[20:21], s[16:17], v[52:53]
	v_add_f64 v[38:39], v[54:55], v[72:73]
	v_fma_f64 v[20:21], v[20:21], s[20:21], v[0:1]
	v_add_f64 v[54:55], v[26:27], v[18:19]
	v_add_f64 v[36:37], v[36:37], v[40:41]
	v_add_f64 v[72:73], v[134:135], -v[10:11]
	v_fma_f64 v[52:53], v[24:25], s[18:19], v[44:45]
	v_fma_f64 v[0:1], v[22:23], s[22:23], v[12:13]
	;; [unrolled: 1-line block ×5, first 2 shown]
	v_fma_f64 v[2:3], v[54:55], -0.5, v[2:3]
	v_add_f64 v[10:11], v[36:37], v[18:19]
	v_add_f64 v[22:23], v[26:27], -v[136:137]
	v_add_f64 v[36:37], v[18:19], -v[40:41]
	v_add_f64 v[38:39], v[4:5], v[32:33]
	v_fma_f64 v[14:15], v[72:73], s[20:21], v[52:53]
	v_fma_f64 v[44:45], v[24:25], s[10:11], v[44:45]
	v_add_f64 v[52:53], v[42:43], v[62:63]
	v_fma_f64 v[54:55], v[72:73], s[10:11], v[2:3]
	v_add_f64 v[26:27], v[136:137], -v[26:27]
	v_add_f64 v[18:19], v[40:41], -v[18:19]
	v_fma_f64 v[2:3], v[72:73], s[18:19], v[2:3]
	v_add_f64 v[22:23], v[22:23], v[36:37]
	v_add_f64 v[36:37], v[38:39], v[42:43]
	v_fma_f64 v[38:39], v[72:73], s[16:17], v[44:45]
	v_fma_f64 v[40:41], v[52:53], -0.5, v[4:5]
	v_add_f64 v[44:45], v[34:35], -v[48:49]
	v_fma_f64 v[52:53], v[24:25], s[20:21], v[54:55]
	v_add_f64 v[26:27], v[26:27], v[18:19]
	v_fma_f64 v[24:25], v[24:25], s[16:17], v[2:3]
	v_add_f64 v[54:55], v[32:33], v[58:59]
	v_add_f64 v[36:37], v[36:37], v[62:63]
	v_fma_f64 v[2:3], v[22:23], s[22:23], v[14:15]
	v_fma_f64 v[14:15], v[22:23], s[22:23], v[38:39]
	;; [unrolled: 1-line block ×3, first 2 shown]
	v_add_f64 v[72:73], v[60:61], -v[56:57]
	v_fma_f64 v[18:19], v[26:27], s[22:23], v[52:53]
	v_fma_f64 v[22:23], v[26:27], s[22:23], v[24:25]
	v_fma_f64 v[24:25], v[54:55], -0.5, v[4:5]
	v_add_f64 v[4:5], v[36:37], v[58:59]
	v_add_f64 v[26:27], v[32:33], -v[42:43]
	v_add_f64 v[36:37], v[58:59], -v[62:63]
	v_fma_f64 v[40:41], v[44:45], s[18:19], v[40:41]
	v_fma_f64 v[38:39], v[72:73], s[16:17], v[38:39]
	v_add_f64 v[52:53], v[6:7], v[34:35]
	v_add_f64 v[120:121], v[42:43], -v[32:33]
	v_fma_f64 v[78:79], v[72:73], s[18:19], v[24:25]
	v_add_f64 v[122:123], v[62:63], -v[58:59]
	v_add_f64 v[54:55], v[60:61], v[56:57]
	v_add_f64 v[26:27], v[26:27], v[36:37]
	v_fma_f64 v[36:37], v[72:73], s[20:21], v[40:41]
	v_fma_f64 v[40:41], v[72:73], s[10:11], v[24:25]
	v_add_f64 v[52:53], v[52:53], v[60:61]
	v_add_f64 v[58:59], v[32:33], -v[58:59]
	v_fma_f64 v[72:73], v[44:45], s[16:17], v[78:79]
	v_add_f64 v[78:79], v[120:121], v[122:123]
	v_fma_f64 v[54:55], v[54:55], -0.5, v[6:7]
	v_fma_f64 v[24:25], v[26:27], s[22:23], v[38:39]
	v_fma_f64 v[32:33], v[26:27], s[22:23], v[36:37]
	;; [unrolled: 1-line block ×3, first 2 shown]
	v_add_f64 v[44:45], v[34:35], v[48:49]
	v_add_f64 v[38:39], v[52:53], v[56:57]
	v_add_f64 v[42:43], v[42:43], -v[62:63]
	v_fma_f64 v[36:37], v[78:79], s[22:23], v[72:73]
	v_fma_f64 v[52:53], v[58:59], s[18:19], v[54:55]
	v_add_f64 v[62:63], v[70:71], v[50:51]
	v_add_f64 v[72:73], v[34:35], -v[60:61]
	v_fma_f64 v[40:41], v[78:79], s[22:23], v[26:27]
	v_fma_f64 v[26:27], v[44:45], -0.5, v[6:7]
	v_add_f64 v[120:121], v[48:49], -v[56:57]
	v_add_f64 v[6:7], v[38:39], v[48:49]
	v_fma_f64 v[54:55], v[58:59], s[10:11], v[54:55]
	v_add_f64 v[34:35], v[60:61], -v[34:35]
	v_add_f64 v[48:49], v[56:57], -v[48:49]
	v_fma_f64 v[38:39], v[42:43], s[20:21], v[52:53]
	v_add_f64 v[44:45], v[28:29], v[64:65]
	v_fma_f64 v[78:79], v[42:43], s[10:11], v[26:27]
	v_fma_f64 v[26:27], v[42:43], s[18:19], v[26:27]
	v_fma_f64 v[52:53], v[62:63], -0.5, v[28:29]
	v_add_f64 v[62:63], v[66:67], -v[76:77]
	v_add_f64 v[72:73], v[72:73], v[120:121]
	v_fma_f64 v[42:43], v[42:43], s[16:17], v[54:55]
	v_add_f64 v[48:49], v[34:35], v[48:49]
	v_add_f64 v[44:45], v[44:45], v[70:71]
	v_fma_f64 v[78:79], v[58:59], s[20:21], v[78:79]
	v_fma_f64 v[58:59], v[58:59], s[16:17], v[26:27]
	v_add_f64 v[60:61], v[46:47], -v[68:69]
	v_fma_f64 v[56:57], v[62:63], s[10:11], v[52:53]
	v_add_f64 v[120:121], v[64:65], -v[70:71]
	v_add_f64 v[122:123], v[74:75], -v[50:51]
	v_add_f64 v[54:55], v[64:65], v[74:75]
	v_fma_f64 v[26:27], v[72:73], s[22:23], v[38:39]
	v_fma_f64 v[34:35], v[72:73], s[22:23], v[42:43]
	v_fma_f64 v[38:39], v[48:49], s[22:23], v[78:79]
	v_fma_f64 v[42:43], v[48:49], s[22:23], v[58:59]
	v_add_f64 v[48:49], v[46:47], v[68:69]
	v_add_f64 v[72:73], v[66:67], v[76:77]
	v_add_f64 v[44:45], v[44:45], v[50:51]
	v_fma_f64 v[56:57], v[60:61], s[16:17], v[56:57]
	v_add_f64 v[120:121], v[120:121], v[122:123]
	v_fma_f64 v[54:55], v[54:55], -0.5, v[28:29]
	v_fma_f64 v[52:53], v[62:63], s[18:19], v[52:53]
	v_add_f64 v[58:59], v[70:71], -v[64:65]
	v_add_f64 v[122:123], v[30:31], v[66:67]
	v_fma_f64 v[48:49], v[48:49], -0.5, v[30:31]
	v_add_f64 v[64:65], v[64:65], -v[74:75]
	v_add_f64 v[78:79], v[50:51], -v[74:75]
	;; [unrolled: 1-line block ×3, first 2 shown]
	v_fma_f64 v[30:31], v[72:73], -0.5, v[30:31]
	v_add_f64 v[28:29], v[44:45], v[74:75]
	v_fma_f64 v[44:45], v[120:121], s[22:23], v[56:57]
	v_fma_f64 v[56:57], v[60:61], s[18:19], v[54:55]
	;; [unrolled: 1-line block ×4, first 2 shown]
	v_add_f64 v[60:61], v[122:123], v[46:47]
	v_fma_f64 v[70:71], v[64:65], s[18:19], v[48:49]
	v_add_f64 v[72:73], v[66:67], -v[46:47]
	v_add_f64 v[74:75], v[76:77], -v[68:69]
	v_add_f64 v[58:59], v[58:59], v[78:79]
	v_fma_f64 v[48:49], v[64:65], s[10:11], v[48:49]
	v_fma_f64 v[78:79], v[50:51], s[10:11], v[30:31]
	v_add_f64 v[46:47], v[46:47], -v[66:67]
	v_add_f64 v[66:67], v[68:69], -v[76:77]
	v_fma_f64 v[30:31], v[50:51], s[18:19], v[30:31]
	v_fma_f64 v[56:57], v[62:63], s[16:17], v[56:57]
	;; [unrolled: 1-line block ×3, first 2 shown]
	v_add_f64 v[60:61], v[60:61], v[68:69]
	v_fma_f64 v[62:63], v[50:51], s[20:21], v[70:71]
	v_add_f64 v[68:69], v[72:73], v[74:75]
	v_fma_f64 v[50:51], v[50:51], s[16:17], v[48:49]
	v_fma_f64 v[70:71], v[64:65], s[20:21], v[78:79]
	v_add_f64 v[66:67], v[46:47], v[66:67]
	v_fma_f64 v[64:65], v[64:65], s[16:17], v[30:31]
	;; [unrolled: 3-line block ×3, first 2 shown]
	v_fma_f64 v[46:47], v[68:69], s[22:23], v[62:63]
	v_fma_f64 v[56:57], v[58:59], s[22:23], v[54:55]
	;; [unrolled: 1-line block ×5, first 2 shown]
	s_barrier
	ds_write_b128 v190, v[8:11]
	ds_write_b128 v190, v[0:3] offset:816
	ds_write_b128 v190, v[16:19] offset:1632
	;; [unrolled: 1-line block ×14, first 2 shown]
	s_waitcnt lgkmcnt(0)
	s_barrier
	ds_read_b128 v[0:3], v190 offset:4080
	ds_read_b128 v[4:7], v190
	ds_read_b128 v[8:11], v190 offset:816
	ds_read_b128 v[12:15], v190 offset:8160
	;; [unrolled: 1-line block ×10, first 2 shown]
	s_waitcnt lgkmcnt(11)
	v_mul_f64 v[60:61], v[86:87], v[2:3]
	v_mul_f64 v[62:63], v[86:87], v[0:1]
	s_waitcnt lgkmcnt(8)
	v_mul_f64 v[64:65], v[82:83], v[14:15]
	v_mul_f64 v[66:67], v[82:83], v[12:13]
	s_waitcnt lgkmcnt(6)
	v_mul_f64 v[68:69], v[94:95], v[22:23]
	ds_read_b128 v[48:51], v190 offset:6528
	ds_read_b128 v[52:55], v190 offset:7344
	;; [unrolled: 1-line block ×3, first 2 shown]
	v_fma_f64 v[60:61], v[84:85], v[0:1], v[60:61]
	v_mul_f64 v[0:1], v[94:95], v[20:21]
	v_fma_f64 v[2:3], v[84:85], v[2:3], -v[62:63]
	v_mul_f64 v[62:63], v[90:91], v[18:19]
	v_fma_f64 v[12:13], v[80:81], v[12:13], v[64:65]
	v_mul_f64 v[64:65], v[90:91], v[16:17]
	v_fma_f64 v[14:15], v[80:81], v[14:15], -v[66:67]
	s_waitcnt lgkmcnt(8)
	v_mul_f64 v[66:67], v[102:103], v[26:27]
	v_fma_f64 v[20:21], v[92:93], v[20:21], v[68:69]
	v_fma_f64 v[22:23], v[92:93], v[22:23], -v[0:1]
	v_mul_f64 v[0:1], v[102:103], v[24:25]
	v_fma_f64 v[16:17], v[88:89], v[16:17], v[62:63]
	s_waitcnt lgkmcnt(5)
	v_mul_f64 v[62:63], v[98:99], v[38:39]
	v_fma_f64 v[18:19], v[88:89], v[18:19], -v[64:65]
	v_mul_f64 v[64:65], v[98:99], v[36:37]
	s_waitcnt lgkmcnt(2)
	v_mul_f64 v[68:69], v[114:115], v[50:51]
	v_fma_f64 v[24:25], v[100:101], v[24:25], v[66:67]
	v_mul_f64 v[66:67], v[114:115], v[48:49]
	v_fma_f64 v[26:27], v[100:101], v[26:27], -v[0:1]
	v_mul_f64 v[0:1], v[106:107], v[42:43]
	v_fma_f64 v[36:37], v[96:97], v[36:37], v[62:63]
	v_mul_f64 v[62:63], v[106:107], v[40:41]
	v_fma_f64 v[38:39], v[96:97], v[38:39], -v[64:65]
	v_fma_f64 v[64:65], v[112:113], v[48:49], v[68:69]
	s_waitcnt lgkmcnt(1)
	v_mul_f64 v[48:49], v[118:119], v[54:55]
	v_fma_f64 v[50:51], v[112:113], v[50:51], -v[66:67]
	v_mul_f64 v[66:67], v[118:119], v[52:53]
	v_fma_f64 v[68:69], v[104:105], v[40:41], v[0:1]
	v_add_f64 v[0:1], v[60:61], v[12:13]
	s_waitcnt lgkmcnt(0)
	v_mul_f64 v[40:41], v[110:111], v[58:59]
	v_fma_f64 v[42:43], v[104:105], v[42:43], -v[62:63]
	v_mul_f64 v[62:63], v[110:111], v[56:57]
	v_fma_f64 v[52:53], v[116:117], v[52:53], v[48:49]
	v_add_f64 v[48:49], v[4:5], v[60:61]
	v_fma_f64 v[54:55], v[116:117], v[54:55], -v[66:67]
	v_add_f64 v[66:67], v[2:3], v[14:15]
	v_fma_f64 v[70:71], v[0:1], -0.5, v[4:5]
	v_add_f64 v[72:73], v[2:3], -v[14:15]
	v_fma_f64 v[56:57], v[108:109], v[56:57], v[40:41]
	v_add_f64 v[40:41], v[20:21], v[16:17]
	v_fma_f64 v[58:59], v[108:109], v[58:59], -v[62:63]
	v_add_f64 v[2:3], v[6:7], v[2:3]
	v_add_f64 v[0:1], v[48:49], v[12:13]
	v_fma_f64 v[48:49], v[66:67], -0.5, v[6:7]
	v_add_f64 v[60:61], v[60:61], -v[12:13]
	v_fma_f64 v[4:5], v[72:73], s[2:3], v[70:71]
	v_fma_f64 v[12:13], v[72:73], s[8:9], v[70:71]
	v_add_f64 v[62:63], v[8:9], v[20:21]
	v_add_f64 v[66:67], v[22:23], v[18:19]
	v_fma_f64 v[40:41], v[40:41], -0.5, v[8:9]
	v_add_f64 v[70:71], v[22:23], -v[18:19]
	v_add_f64 v[2:3], v[2:3], v[14:15]
	v_fma_f64 v[6:7], v[60:61], s[8:9], v[48:49]
	v_add_f64 v[22:23], v[10:11], v[22:23]
	v_fma_f64 v[14:15], v[60:61], s[2:3], v[48:49]
	v_add_f64 v[8:9], v[62:63], v[16:17]
	v_add_f64 v[48:49], v[24:25], v[36:37]
	v_fma_f64 v[60:61], v[66:67], -0.5, v[10:11]
	v_add_f64 v[62:63], v[20:21], -v[16:17]
	v_fma_f64 v[16:17], v[70:71], s[2:3], v[40:41]
	v_fma_f64 v[20:21], v[70:71], s[8:9], v[40:41]
	v_add_f64 v[40:41], v[26:27], v[38:39]
	v_add_f64 v[10:11], v[22:23], v[18:19]
	;; [unrolled: 1-line block ×3, first 2 shown]
	v_fma_f64 v[48:49], v[48:49], -0.5, v[28:29]
	v_add_f64 v[70:71], v[26:27], -v[38:39]
	v_fma_f64 v[18:19], v[62:63], s[8:9], v[60:61]
	v_add_f64 v[72:73], v[64:65], v[68:69]
	v_fma_f64 v[22:23], v[62:63], s[2:3], v[60:61]
	v_add_f64 v[26:27], v[30:31], v[26:27]
	v_fma_f64 v[40:41], v[40:41], -0.5, v[30:31]
	v_add_f64 v[60:61], v[24:25], -v[36:37]
	v_add_f64 v[62:63], v[32:33], v[64:65]
	v_add_f64 v[24:25], v[66:67], v[36:37]
	v_fma_f64 v[28:29], v[70:71], s[2:3], v[48:49]
	v_fma_f64 v[66:67], v[72:73], -0.5, v[32:33]
	v_add_f64 v[72:73], v[50:51], -v[42:43]
	v_fma_f64 v[36:37], v[70:71], s[8:9], v[48:49]
	v_add_f64 v[26:27], v[26:27], v[38:39]
	v_fma_f64 v[30:31], v[60:61], s[8:9], v[40:41]
	v_add_f64 v[70:71], v[50:51], v[42:43]
	;; [unrolled: 2-line block ×3, first 2 shown]
	v_add_f64 v[60:61], v[52:53], v[56:57]
	v_add_f64 v[62:63], v[54:55], v[58:59]
	v_fma_f64 v[40:41], v[72:73], s[2:3], v[66:67]
	v_fma_f64 v[48:49], v[72:73], s[8:9], v[66:67]
	v_add_f64 v[50:51], v[34:35], v[50:51]
	v_fma_f64 v[66:67], v[70:71], -0.5, v[34:35]
	v_add_f64 v[64:65], v[64:65], -v[68:69]
	v_add_f64 v[68:69], v[44:45], v[52:53]
	v_fma_f64 v[60:61], v[60:61], -0.5, v[44:45]
	v_add_f64 v[70:71], v[54:55], -v[58:59]
	;; [unrolled: 3-line block ×3, first 2 shown]
	v_add_f64 v[34:35], v[50:51], v[42:43]
	v_fma_f64 v[42:43], v[64:65], s[8:9], v[66:67]
	v_fma_f64 v[50:51], v[64:65], s[2:3], v[66:67]
	v_add_f64 v[44:45], v[68:69], v[56:57]
	v_fma_f64 v[52:53], v[70:71], s[2:3], v[60:61]
	v_fma_f64 v[56:57], v[70:71], s[8:9], v[60:61]
	;; [unrolled: 3-line block ×3, first 2 shown]
	ds_write_b128 v255, v[0:3]
	ds_write_b128 v255, v[4:7] offset:4080
	ds_write_b128 v255, v[12:15] offset:8160
	;; [unrolled: 1-line block ×14, first 2 shown]
	s_waitcnt lgkmcnt(0)
	s_barrier
	s_and_b64 exec, exec, s[0:1]
	s_cbranch_execz .LBB0_15
; %bb.14:
	global_load_dwordx4 v[1:4], v200, s[12:13]
	ds_read_b128 v[5:8], v255
	v_mad_u64_u32 v[13:14], s[0:1], s6, v245, 0
	v_mad_u64_u32 v[15:16], s[0:1], s4, v201, 0
	v_lshl_add_u32 v0, v202, 4, v186
	ds_read_b128 v[9:12], v0 offset:720
	v_mad_u64_u32 v[19:20], s[0:1], s7, v245, v[14:15]
	s_mul_i32 s3, s5, 0x2d0
	s_mul_i32 s2, s4, 0x2d0
	v_mov_b32_e32 v14, v19
	s_waitcnt vmcnt(0) lgkmcnt(1)
	v_mul_f64 v[17:18], v[7:8], v[3:4]
	v_mul_f64 v[3:4], v[5:6], v[3:4]
	v_fma_f64 v[5:6], v[5:6], v[1:2], v[17:18]
	v_fma_f64 v[3:4], v[1:2], v[7:8], -v[3:4]
	v_mad_u64_u32 v[20:21], s[0:1], s5, v201, v[16:17]
	s_mov_b32 s0, 0x156ac015
	s_mov_b32 s1, 0x3f556ac0
	v_lshlrev_b64 v[7:8], 4, v[13:14]
	v_mov_b32_e32 v16, v20
	v_mul_f64 v[1:2], v[5:6], s[0:1]
	v_mul_f64 v[3:4], v[3:4], s[0:1]
	v_mov_b32_e32 v17, s15
	v_lshlrev_b64 v[13:14], 4, v[15:16]
	v_add_co_u32_e32 v5, vcc, s14, v7
	v_addc_co_u32_e32 v6, vcc, v17, v8, vcc
	v_add_co_u32_e32 v5, vcc, v5, v13
	v_addc_co_u32_e32 v6, vcc, v6, v14, vcc
	global_store_dwordx4 v[5:6], v[1:4], off
	global_load_dwordx4 v[1:4], v200, s[12:13] offset:720
	s_mul_hi_u32 s5, s4, 0x2d0
	s_add_i32 s3, s5, s3
	v_add_co_u32_e32 v13, vcc, s2, v5
	s_movk_i32 s4, 0x1000
	s_waitcnt vmcnt(0) lgkmcnt(0)
	v_mul_f64 v[7:8], v[11:12], v[3:4]
	v_mul_f64 v[3:4], v[9:10], v[3:4]
	v_fma_f64 v[7:8], v[9:10], v[1:2], v[7:8]
	v_fma_f64 v[3:4], v[1:2], v[11:12], -v[3:4]
	v_mul_f64 v[1:2], v[7:8], s[0:1]
	v_mul_f64 v[3:4], v[3:4], s[0:1]
	v_mov_b32_e32 v7, s3
	v_addc_co_u32_e32 v14, vcc, v6, v7, vcc
	global_store_dwordx4 v[13:14], v[1:4], off
	global_load_dwordx4 v[1:4], v200, s[12:13] offset:1440
	ds_read_b128 v[5:8], v0 offset:1440
	ds_read_b128 v[9:12], v0 offset:2160
	s_waitcnt vmcnt(0) lgkmcnt(1)
	v_mul_f64 v[15:16], v[7:8], v[3:4]
	v_mul_f64 v[3:4], v[5:6], v[3:4]
	v_fma_f64 v[5:6], v[5:6], v[1:2], v[15:16]
	v_fma_f64 v[3:4], v[1:2], v[7:8], -v[3:4]
	v_mul_f64 v[1:2], v[5:6], s[0:1]
	v_mul_f64 v[3:4], v[3:4], s[0:1]
	v_mov_b32_e32 v6, s3
	v_add_co_u32_e32 v5, vcc, s2, v13
	v_addc_co_u32_e32 v6, vcc, v14, v6, vcc
	v_add_co_u32_e32 v13, vcc, s2, v5
	global_store_dwordx4 v[5:6], v[1:4], off
	global_load_dwordx4 v[1:4], v200, s[12:13] offset:2160
	s_waitcnt vmcnt(0) lgkmcnt(0)
	v_mul_f64 v[7:8], v[11:12], v[3:4]
	v_mul_f64 v[3:4], v[9:10], v[3:4]
	v_fma_f64 v[7:8], v[9:10], v[1:2], v[7:8]
	v_fma_f64 v[3:4], v[1:2], v[11:12], -v[3:4]
	v_mul_f64 v[1:2], v[7:8], s[0:1]
	v_mul_f64 v[3:4], v[3:4], s[0:1]
	v_mov_b32_e32 v7, s3
	v_addc_co_u32_e32 v14, vcc, v6, v7, vcc
	global_store_dwordx4 v[13:14], v[1:4], off
	global_load_dwordx4 v[1:4], v200, s[12:13] offset:2880
	ds_read_b128 v[5:8], v0 offset:2880
	ds_read_b128 v[9:12], v0 offset:3600
	s_waitcnt vmcnt(0) lgkmcnt(1)
	v_mul_f64 v[15:16], v[7:8], v[3:4]
	v_mul_f64 v[3:4], v[5:6], v[3:4]
	v_fma_f64 v[5:6], v[5:6], v[1:2], v[15:16]
	v_fma_f64 v[3:4], v[1:2], v[7:8], -v[3:4]
	v_mul_f64 v[1:2], v[5:6], s[0:1]
	v_mul_f64 v[3:4], v[3:4], s[0:1]
	v_mov_b32_e32 v6, s3
	v_add_co_u32_e32 v5, vcc, s2, v13
	v_addc_co_u32_e32 v6, vcc, v14, v6, vcc
	v_mov_b32_e32 v13, s13
	v_add_co_u32_e32 v19, vcc, s12, v200
	global_store_dwordx4 v[5:6], v[1:4], off
	global_load_dwordx4 v[1:4], v200, s[12:13] offset:3600
	v_addc_co_u32_e32 v20, vcc, 0, v13, vcc
	v_add_co_u32_e32 v13, vcc, s4, v19
	v_addc_co_u32_e32 v14, vcc, 0, v20, vcc
	v_add_co_u32_e32 v15, vcc, s2, v5
	s_movk_i32 s4, 0x2000
	s_waitcnt vmcnt(0) lgkmcnt(0)
	v_mul_f64 v[7:8], v[11:12], v[3:4]
	v_mul_f64 v[3:4], v[9:10], v[3:4]
	v_fma_f64 v[7:8], v[9:10], v[1:2], v[7:8]
	v_fma_f64 v[3:4], v[1:2], v[11:12], -v[3:4]
	v_mov_b32_e32 v9, s3
	v_addc_co_u32_e32 v16, vcc, v6, v9, vcc
	v_mul_f64 v[1:2], v[7:8], s[0:1]
	v_mul_f64 v[3:4], v[3:4], s[0:1]
	global_store_dwordx4 v[15:16], v[1:4], off
	global_load_dwordx4 v[1:4], v[13:14], off offset:224
	ds_read_b128 v[5:8], v0 offset:4320
	ds_read_b128 v[9:12], v0 offset:5040
	s_waitcnt vmcnt(0) lgkmcnt(1)
	v_mul_f64 v[17:18], v[7:8], v[3:4]
	v_mul_f64 v[3:4], v[5:6], v[3:4]
	v_fma_f64 v[5:6], v[5:6], v[1:2], v[17:18]
	v_fma_f64 v[3:4], v[1:2], v[7:8], -v[3:4]
	v_mul_f64 v[1:2], v[5:6], s[0:1]
	v_mul_f64 v[3:4], v[3:4], s[0:1]
	v_mov_b32_e32 v6, s3
	v_add_co_u32_e32 v5, vcc, s2, v15
	v_addc_co_u32_e32 v6, vcc, v16, v6, vcc
	v_add_co_u32_e32 v15, vcc, s2, v5
	global_store_dwordx4 v[5:6], v[1:4], off
	global_load_dwordx4 v[1:4], v[13:14], off offset:944
	s_waitcnt vmcnt(0) lgkmcnt(0)
	v_mul_f64 v[7:8], v[11:12], v[3:4]
	v_mul_f64 v[3:4], v[9:10], v[3:4]
	v_fma_f64 v[7:8], v[9:10], v[1:2], v[7:8]
	v_fma_f64 v[3:4], v[1:2], v[11:12], -v[3:4]
	v_mul_f64 v[1:2], v[7:8], s[0:1]
	v_mul_f64 v[3:4], v[3:4], s[0:1]
	v_mov_b32_e32 v7, s3
	v_addc_co_u32_e32 v16, vcc, v6, v7, vcc
	global_store_dwordx4 v[15:16], v[1:4], off
	global_load_dwordx4 v[1:4], v[13:14], off offset:1664
	ds_read_b128 v[5:8], v0 offset:5760
	ds_read_b128 v[9:12], v0 offset:6480
	s_waitcnt vmcnt(0) lgkmcnt(1)
	v_mul_f64 v[17:18], v[7:8], v[3:4]
	v_mul_f64 v[3:4], v[5:6], v[3:4]
	v_fma_f64 v[5:6], v[5:6], v[1:2], v[17:18]
	v_fma_f64 v[3:4], v[1:2], v[7:8], -v[3:4]
	v_mul_f64 v[1:2], v[5:6], s[0:1]
	v_mul_f64 v[3:4], v[3:4], s[0:1]
	v_mov_b32_e32 v6, s3
	v_add_co_u32_e32 v5, vcc, s2, v15
	v_addc_co_u32_e32 v6, vcc, v16, v6, vcc
	v_add_co_u32_e32 v15, vcc, s2, v5
	global_store_dwordx4 v[5:6], v[1:4], off
	global_load_dwordx4 v[1:4], v[13:14], off offset:2384
	s_waitcnt vmcnt(0) lgkmcnt(0)
	v_mul_f64 v[7:8], v[11:12], v[3:4]
	v_mul_f64 v[3:4], v[9:10], v[3:4]
	v_fma_f64 v[7:8], v[9:10], v[1:2], v[7:8]
	v_fma_f64 v[3:4], v[1:2], v[11:12], -v[3:4]
	v_mul_f64 v[1:2], v[7:8], s[0:1]
	v_mul_f64 v[3:4], v[3:4], s[0:1]
	v_mov_b32_e32 v7, s3
	v_addc_co_u32_e32 v16, vcc, v6, v7, vcc
	global_store_dwordx4 v[15:16], v[1:4], off
	global_load_dwordx4 v[1:4], v[13:14], off offset:3104
	ds_read_b128 v[5:8], v0 offset:7200
	ds_read_b128 v[9:12], v0 offset:7920
	s_waitcnt vmcnt(0) lgkmcnt(1)
	v_mul_f64 v[17:18], v[7:8], v[3:4]
	v_mul_f64 v[3:4], v[5:6], v[3:4]
	v_fma_f64 v[5:6], v[5:6], v[1:2], v[17:18]
	v_fma_f64 v[3:4], v[1:2], v[7:8], -v[3:4]
	v_mul_f64 v[1:2], v[5:6], s[0:1]
	v_mul_f64 v[3:4], v[3:4], s[0:1]
	v_mov_b32_e32 v6, s3
	v_add_co_u32_e32 v5, vcc, s2, v15
	v_addc_co_u32_e32 v6, vcc, v16, v6, vcc
	global_store_dwordx4 v[5:6], v[1:4], off
	global_load_dwordx4 v[1:4], v[13:14], off offset:3824
	v_add_co_u32_e32 v13, vcc, s4, v19
	v_addc_co_u32_e32 v14, vcc, 0, v20, vcc
	v_add_co_u32_e32 v15, vcc, s2, v5
	s_waitcnt vmcnt(0) lgkmcnt(0)
	v_mul_f64 v[7:8], v[11:12], v[3:4]
	v_mul_f64 v[3:4], v[9:10], v[3:4]
	v_fma_f64 v[7:8], v[9:10], v[1:2], v[7:8]
	v_fma_f64 v[3:4], v[1:2], v[11:12], -v[3:4]
	v_mov_b32_e32 v9, s3
	v_addc_co_u32_e32 v16, vcc, v6, v9, vcc
	v_mul_f64 v[1:2], v[7:8], s[0:1]
	v_mul_f64 v[3:4], v[3:4], s[0:1]
	global_store_dwordx4 v[15:16], v[1:4], off
	global_load_dwordx4 v[1:4], v[13:14], off offset:448
	ds_read_b128 v[5:8], v0 offset:8640
	ds_read_b128 v[9:12], v0 offset:9360
	s_waitcnt vmcnt(0) lgkmcnt(1)
	v_mul_f64 v[17:18], v[7:8], v[3:4]
	v_mul_f64 v[3:4], v[5:6], v[3:4]
	v_fma_f64 v[5:6], v[5:6], v[1:2], v[17:18]
	v_fma_f64 v[3:4], v[1:2], v[7:8], -v[3:4]
	v_mul_f64 v[1:2], v[5:6], s[0:1]
	v_mul_f64 v[3:4], v[3:4], s[0:1]
	v_mov_b32_e32 v6, s3
	v_add_co_u32_e32 v5, vcc, s2, v15
	v_addc_co_u32_e32 v6, vcc, v16, v6, vcc
	v_add_co_u32_e32 v15, vcc, s2, v5
	global_store_dwordx4 v[5:6], v[1:4], off
	global_load_dwordx4 v[1:4], v[13:14], off offset:1168
	s_waitcnt vmcnt(0) lgkmcnt(0)
	v_mul_f64 v[7:8], v[11:12], v[3:4]
	v_mul_f64 v[3:4], v[9:10], v[3:4]
	v_fma_f64 v[7:8], v[9:10], v[1:2], v[7:8]
	v_fma_f64 v[3:4], v[1:2], v[11:12], -v[3:4]
	v_mul_f64 v[1:2], v[7:8], s[0:1]
	v_mul_f64 v[3:4], v[3:4], s[0:1]
	v_mov_b32_e32 v7, s3
	v_addc_co_u32_e32 v16, vcc, v6, v7, vcc
	global_store_dwordx4 v[15:16], v[1:4], off
	global_load_dwordx4 v[1:4], v[13:14], off offset:1888
	ds_read_b128 v[5:8], v0 offset:10080
	ds_read_b128 v[9:12], v0 offset:10800
	s_waitcnt vmcnt(0) lgkmcnt(1)
	v_mul_f64 v[17:18], v[7:8], v[3:4]
	v_mul_f64 v[3:4], v[5:6], v[3:4]
	v_fma_f64 v[5:6], v[5:6], v[1:2], v[17:18]
	v_fma_f64 v[3:4], v[1:2], v[7:8], -v[3:4]
	v_mul_f64 v[1:2], v[5:6], s[0:1]
	v_mul_f64 v[3:4], v[3:4], s[0:1]
	v_mov_b32_e32 v6, s3
	v_add_co_u32_e32 v5, vcc, s2, v15
	v_addc_co_u32_e32 v6, vcc, v16, v6, vcc
	global_store_dwordx4 v[5:6], v[1:4], off
	global_load_dwordx4 v[1:4], v[13:14], off offset:2608
	s_waitcnt vmcnt(0) lgkmcnt(0)
	v_mul_f64 v[7:8], v[11:12], v[3:4]
	v_mul_f64 v[3:4], v[9:10], v[3:4]
	v_fma_f64 v[7:8], v[9:10], v[1:2], v[7:8]
	v_fma_f64 v[3:4], v[1:2], v[11:12], -v[3:4]
	v_add_co_u32_e32 v9, vcc, s2, v5
	v_mul_f64 v[1:2], v[7:8], s[0:1]
	v_mul_f64 v[3:4], v[3:4], s[0:1]
	v_mov_b32_e32 v7, s3
	v_addc_co_u32_e32 v10, vcc, v6, v7, vcc
	ds_read_b128 v[5:8], v0 offset:11520
	global_store_dwordx4 v[9:10], v[1:4], off
	global_load_dwordx4 v[1:4], v[13:14], off offset:3328
	s_waitcnt vmcnt(0) lgkmcnt(0)
	v_mul_f64 v[11:12], v[7:8], v[3:4]
	v_mul_f64 v[3:4], v[5:6], v[3:4]
	v_fma_f64 v[5:6], v[5:6], v[1:2], v[11:12]
	v_fma_f64 v[2:3], v[1:2], v[7:8], -v[3:4]
	v_add_co_u32_e32 v4, vcc, s2, v9
	v_mul_f64 v[0:1], v[5:6], s[0:1]
	v_mul_f64 v[2:3], v[2:3], s[0:1]
	v_mov_b32_e32 v5, s3
	v_addc_co_u32_e32 v5, vcc, v10, v5, vcc
	global_store_dwordx4 v[4:5], v[0:3], off
.LBB0_15:
	s_endpgm
	.section	.rodata,"a",@progbits
	.p2align	6, 0x0
	.amdhsa_kernel bluestein_single_back_len765_dim1_dp_op_CI_CI
		.amdhsa_group_segment_fixed_size 61200
		.amdhsa_private_segment_fixed_size 460
		.amdhsa_kernarg_size 104
		.amdhsa_user_sgpr_count 6
		.amdhsa_user_sgpr_private_segment_buffer 1
		.amdhsa_user_sgpr_dispatch_ptr 0
		.amdhsa_user_sgpr_queue_ptr 0
		.amdhsa_user_sgpr_kernarg_segment_ptr 1
		.amdhsa_user_sgpr_dispatch_id 0
		.amdhsa_user_sgpr_flat_scratch_init 0
		.amdhsa_user_sgpr_private_segment_size 0
		.amdhsa_uses_dynamic_stack 0
		.amdhsa_system_sgpr_private_segment_wavefront_offset 1
		.amdhsa_system_sgpr_workgroup_id_x 1
		.amdhsa_system_sgpr_workgroup_id_y 0
		.amdhsa_system_sgpr_workgroup_id_z 0
		.amdhsa_system_sgpr_workgroup_info 0
		.amdhsa_system_vgpr_workitem_id 0
		.amdhsa_next_free_vgpr 256
		.amdhsa_next_free_sgpr 68
		.amdhsa_reserve_vcc 1
		.amdhsa_reserve_flat_scratch 0
		.amdhsa_float_round_mode_32 0
		.amdhsa_float_round_mode_16_64 0
		.amdhsa_float_denorm_mode_32 3
		.amdhsa_float_denorm_mode_16_64 3
		.amdhsa_dx10_clamp 1
		.amdhsa_ieee_mode 1
		.amdhsa_fp16_overflow 0
		.amdhsa_exception_fp_ieee_invalid_op 0
		.amdhsa_exception_fp_denorm_src 0
		.amdhsa_exception_fp_ieee_div_zero 0
		.amdhsa_exception_fp_ieee_overflow 0
		.amdhsa_exception_fp_ieee_underflow 0
		.amdhsa_exception_fp_ieee_inexact 0
		.amdhsa_exception_int_div_zero 0
	.end_amdhsa_kernel
	.text
.Lfunc_end0:
	.size	bluestein_single_back_len765_dim1_dp_op_CI_CI, .Lfunc_end0-bluestein_single_back_len765_dim1_dp_op_CI_CI
                                        ; -- End function
	.section	.AMDGPU.csdata,"",@progbits
; Kernel info:
; codeLenInByte = 29656
; NumSgprs: 72
; NumVgprs: 256
; ScratchSize: 460
; MemoryBound: 0
; FloatMode: 240
; IeeeMode: 1
; LDSByteSize: 61200 bytes/workgroup (compile time only)
; SGPRBlocks: 8
; VGPRBlocks: 63
; NumSGPRsForWavesPerEU: 72
; NumVGPRsForWavesPerEU: 256
; Occupancy: 1
; WaveLimiterHint : 1
; COMPUTE_PGM_RSRC2:SCRATCH_EN: 1
; COMPUTE_PGM_RSRC2:USER_SGPR: 6
; COMPUTE_PGM_RSRC2:TRAP_HANDLER: 0
; COMPUTE_PGM_RSRC2:TGID_X_EN: 1
; COMPUTE_PGM_RSRC2:TGID_Y_EN: 0
; COMPUTE_PGM_RSRC2:TGID_Z_EN: 0
; COMPUTE_PGM_RSRC2:TIDIG_COMP_CNT: 0
	.type	__hip_cuid_abad1dca2b982d44,@object ; @__hip_cuid_abad1dca2b982d44
	.section	.bss,"aw",@nobits
	.globl	__hip_cuid_abad1dca2b982d44
__hip_cuid_abad1dca2b982d44:
	.byte	0                               ; 0x0
	.size	__hip_cuid_abad1dca2b982d44, 1

	.ident	"AMD clang version 19.0.0git (https://github.com/RadeonOpenCompute/llvm-project roc-6.4.0 25133 c7fe45cf4b819c5991fe208aaa96edf142730f1d)"
	.section	".note.GNU-stack","",@progbits
	.addrsig
	.addrsig_sym __hip_cuid_abad1dca2b982d44
	.amdgpu_metadata
---
amdhsa.kernels:
  - .args:
      - .actual_access:  read_only
        .address_space:  global
        .offset:         0
        .size:           8
        .value_kind:     global_buffer
      - .actual_access:  read_only
        .address_space:  global
        .offset:         8
        .size:           8
        .value_kind:     global_buffer
      - .actual_access:  read_only
        .address_space:  global
        .offset:         16
        .size:           8
        .value_kind:     global_buffer
      - .actual_access:  read_only
        .address_space:  global
        .offset:         24
        .size:           8
        .value_kind:     global_buffer
      - .actual_access:  read_only
        .address_space:  global
        .offset:         32
        .size:           8
        .value_kind:     global_buffer
      - .offset:         40
        .size:           8
        .value_kind:     by_value
      - .address_space:  global
        .offset:         48
        .size:           8
        .value_kind:     global_buffer
      - .address_space:  global
        .offset:         56
        .size:           8
        .value_kind:     global_buffer
      - .address_space:  global
        .offset:         64
        .size:           8
        .value_kind:     global_buffer
      - .address_space:  global
        .offset:         72
        .size:           8
        .value_kind:     global_buffer
      - .offset:         80
        .size:           4
        .value_kind:     by_value
      - .address_space:  global
        .offset:         88
        .size:           8
        .value_kind:     global_buffer
      - .address_space:  global
        .offset:         96
        .size:           8
        .value_kind:     global_buffer
    .group_segment_fixed_size: 61200
    .kernarg_segment_align: 8
    .kernarg_segment_size: 104
    .language:       OpenCL C
    .language_version:
      - 2
      - 0
    .max_flat_workgroup_size: 255
    .name:           bluestein_single_back_len765_dim1_dp_op_CI_CI
    .private_segment_fixed_size: 460
    .sgpr_count:     72
    .sgpr_spill_count: 0
    .symbol:         bluestein_single_back_len765_dim1_dp_op_CI_CI.kd
    .uniform_work_group_size: 1
    .uses_dynamic_stack: false
    .vgpr_count:     256
    .vgpr_spill_count: 129
    .wavefront_size: 64
amdhsa.target:   amdgcn-amd-amdhsa--gfx906
amdhsa.version:
  - 1
  - 2
...

	.end_amdgpu_metadata
